;; amdgpu-corpus repo=ROCm/rocFFT kind=compiled arch=gfx1201 opt=O3
	.text
	.amdgcn_target "amdgcn-amd-amdhsa--gfx1201"
	.amdhsa_code_object_version 6
	.protected	bluestein_single_fwd_len1176_dim1_half_op_CI_CI ; -- Begin function bluestein_single_fwd_len1176_dim1_half_op_CI_CI
	.globl	bluestein_single_fwd_len1176_dim1_half_op_CI_CI
	.p2align	8
	.type	bluestein_single_fwd_len1176_dim1_half_op_CI_CI,@function
bluestein_single_fwd_len1176_dim1_half_op_CI_CI: ; @bluestein_single_fwd_len1176_dim1_half_op_CI_CI
; %bb.0:
	s_load_b128 s[12:15], s[0:1], 0x28
	v_mul_u32_u24_e32 v1, 0x493, v0
	s_mov_b32 s2, exec_lo
	v_mov_b32_e32 v27, 0
	s_delay_alu instid0(VALU_DEP_2) | instskip(NEXT) | instid1(VALU_DEP_1)
	v_lshrrev_b32_e32 v1, 16, v1
	v_add_nc_u32_e32 v26, ttmp9, v1
	s_wait_kmcnt 0x0
	s_delay_alu instid0(VALU_DEP_1)
	v_cmpx_gt_u64_e64 s[12:13], v[26:27]
	s_cbranch_execz .LBB0_31
; %bb.1:
	s_clause 0x1
	s_load_b128 s[4:7], s[0:1], 0x18
	s_load_b64 s[12:13], s[0:1], 0x0
	v_mul_lo_u16 v1, v1, 56
	s_movk_i32 s2, 0xfdec
	s_mov_b32 s3, -1
	s_delay_alu instid0(VALU_DEP_1)
	v_sub_nc_u16 v2, v0, v1
	s_wait_kmcnt 0x0
	s_load_b128 s[8:11], s[4:5], 0x0
	s_wait_kmcnt 0x0
	v_mad_co_u64_u32 v[0:1], null, s10, v26, 0
	s_mul_u64 s[4:5], s[8:9], 0x24c
	s_mul_u64 s[2:3], s[8:9], s[2:3]
	s_delay_alu instid0(SALU_CYCLE_1) | instskip(NEXT) | instid1(VALU_DEP_1)
	s_lshl_b64 s[2:3], s[2:3], 2
	v_mad_co_u64_u32 v[7:8], null, s11, v26, v[1:2]
	v_and_b32_e32 v94, 0xffff, v2
	s_lshl_b64 s[10:11], s[4:5], 2
	s_delay_alu instid0(VALU_DEP_2) | instskip(NEXT) | instid1(VALU_DEP_2)
	v_mov_b32_e32 v1, v7
	v_or_b32_e32 v63, 0x1c0, v94
	v_mad_co_u64_u32 v[3:4], null, s8, v94, 0
	s_delay_alu instid0(VALU_DEP_3) | instskip(NEXT) | instid1(VALU_DEP_3)
	v_lshlrev_b64_e32 v[0:1], 2, v[0:1]
	v_mad_co_u64_u32 v[5:6], null, s8, v63, 0
	v_lshlrev_b32_e32 v61, 2, v94
	s_delay_alu instid0(VALU_DEP_2) | instskip(NEXT) | instid1(VALU_DEP_3)
	v_mad_co_u64_u32 v[8:9], null, s9, v94, v[4:5]
	v_mov_b32_e32 v4, v6
	s_clause 0x13
	global_load_b32 v95, v61, s[12:13] offset:2576
	global_load_b32 v90, v61, s[12:13] offset:2800
	;; [unrolled: 1-line block ×5, first 2 shown]
	global_load_b32 v101, v61, s[12:13]
	global_load_b32 v97, v61, s[12:13] offset:224
	global_load_b32 v93, v61, s[12:13] offset:448
	;; [unrolled: 1-line block ×14, first 2 shown]
	v_mad_co_u64_u32 v[6:7], null, s9, v63, v[4:5]
	v_mov_b32_e32 v4, v8
	v_add_co_u32 v7, vcc_lo, s14, v0
	v_add_co_ci_u32_e32 v8, vcc_lo, s15, v1, vcc_lo
	s_delay_alu instid0(VALU_DEP_3)
	v_lshlrev_b64_e32 v[3:4], 2, v[3:4]
	v_lshlrev_b64_e32 v[0:1], 2, v[5:6]
	v_add_nc_u32_e32 v30, 0xa00, v61
	v_add_nc_u32_e32 v14, 0xc00, v61
	v_add_co_u32 v24, s14, s12, v61
	v_add_co_u32 v3, vcc_lo, v7, v3
	s_wait_alu 0xfffd
	v_add_co_ci_u32_e32 v4, vcc_lo, v8, v4, vcc_lo
	v_add_co_u32 v0, vcc_lo, v7, v0
	s_wait_alu 0xfffd
	v_add_co_ci_u32_e32 v1, vcc_lo, v8, v1, vcc_lo
	s_wait_alu 0xfffe
	v_add_co_u32 v5, vcc_lo, v3, s10
	s_wait_alu 0xfffd
	v_add_co_ci_u32_e32 v6, vcc_lo, s11, v4, vcc_lo
	s_clause 0x2
	global_load_b32 v11, v[3:4], off
	global_load_b32 v12, v[0:1], off
	;; [unrolled: 1-line block ×3, first 2 shown]
	v_add_co_u32 v0, vcc_lo, v5, s2
	s_wait_alu 0xfffd
	v_add_co_ci_u32_e32 v1, vcc_lo, s3, v6, vcc_lo
	s_wait_alu 0xf1ff
	v_add_co_ci_u32_e64 v25, null, s13, 0, s14
	v_add_co_u32 v3, vcc_lo, v0, s10
	s_wait_alu 0xfffd
	v_add_co_ci_u32_e32 v4, vcc_lo, s11, v1, vcc_lo
	s_clause 0x1
	global_load_b32 v15, v[0:1], off
	global_load_b32 v16, v[3:4], off
	v_add_co_u32 v0, vcc_lo, v3, s2
	s_wait_alu 0xfffd
	v_add_co_ci_u32_e32 v1, vcc_lo, s3, v4, vcc_lo
	s_delay_alu instid0(VALU_DEP_2) | instskip(SKIP_1) | instid1(VALU_DEP_2)
	v_add_co_u32 v3, vcc_lo, v0, s10
	s_wait_alu 0xfffd
	v_add_co_ci_u32_e32 v4, vcc_lo, s11, v1, vcc_lo
	global_load_b32 v17, v[0:1], off
	v_add_co_u32 v5, vcc_lo, v3, s2
	s_wait_alu 0xfffd
	v_add_co_ci_u32_e32 v6, vcc_lo, s3, v4, vcc_lo
	global_load_b32 v18, v[3:4], off
	;; [unrolled: 4-line block ×10, first 2 shown]
	v_add_co_u32 v9, vcc_lo, v0, s10
	s_wait_alu 0xfffd
	v_add_co_ci_u32_e32 v10, vcc_lo, s11, v1, vcc_lo
	v_add_nc_u32_e32 v5, 0x200, v61
	s_delay_alu instid0(VALU_DEP_2) | instskip(SKIP_3) | instid1(VALU_DEP_1)
	v_mad_co_u64_u32 v[7:8], null, 0xe0, s8, v[9:10]
	global_load_b32 v29, v[0:1], off
	global_load_b32 v9, v[9:10], off
	v_mov_b32_e32 v3, v8
	v_mad_co_u64_u32 v[3:4], null, 0xe0, s9, v[3:4]
	s_delay_alu instid0(VALU_DEP_1) | instskip(SKIP_2) | instid1(VALU_DEP_2)
	v_mov_b32_e32 v8, v3
	v_add_co_u32 v3, vcc_lo, v7, s2
	s_wait_alu 0xfffd
	v_add_co_ci_u32_e32 v4, vcc_lo, s3, v8, vcc_lo
	s_delay_alu instid0(VALU_DEP_2) | instskip(SKIP_1) | instid1(VALU_DEP_2)
	v_add_co_u32 v0, vcc_lo, v3, s10
	s_wait_alu 0xfffd
	v_add_co_ci_u32_e32 v1, vcc_lo, s11, v4, vcc_lo
	global_load_b32 v7, v[7:8], off
	global_load_b32 v8, v[3:4], off
	;; [unrolled: 1-line block ×3, first 2 shown]
	s_load_b64 s[8:9], s[0:1], 0x38
	s_load_b128 s[4:7], s[6:7], 0x0
	v_add_nc_u32_e32 v4, 0x800, v61
	v_add_nc_u32_e32 v3, 0x400, v61
	v_cmp_gt_u16_e32 vcc_lo, 28, v2
	s_wait_loadcnt 0x22
	v_lshrrev_b32_e32 v103, 16, v101
	s_wait_loadcnt 0x21
	v_lshrrev_b32_e32 v99, 16, v97
	;; [unrolled: 2-line block ×3, first 2 shown]
	v_lshrrev_b32_e32 v98, 16, v95
	v_lshrrev_b32_e32 v92, 16, v90
	s_wait_loadcnt 0x1f
	v_lshrrev_b32_e32 v91, 16, v88
	v_lshrrev_b32_e32 v89, 16, v86
	s_wait_loadcnt 0x1e
	v_lshrrev_b32_e32 v87, 16, v84
	s_wait_loadcnt 0x19
	v_lshrrev_b32_e32 v102, 16, v100
	v_lshrrev_b32_e32 v70, 16, v69
	;; [unrolled: 1-line block ×6, first 2 shown]
	s_wait_loadcnt 0x17
	v_lshrrev_b32_e32 v77, 16, v75
	v_lshrrev_b32_e32 v74, 16, v72
	s_wait_loadcnt 0x16
	v_lshrrev_b32_e32 v73, 16, v71
	s_wait_loadcnt 0x15
	v_lshrrev_b32_e32 v68, 16, v67
	v_lshrrev_b32_e32 v66, 16, v64
	s_wait_loadcnt 0x14
	v_lshrrev_b32_e32 v65, 16, v62
	s_wait_loadcnt 0x13
	v_lshrrev_b32_e32 v31, 16, v11
	v_mul_f16_e32 v32, v103, v11
	s_wait_loadcnt 0x12
	v_lshrrev_b32_e32 v33, 16, v12
	v_mul_f16_e32 v34, v70, v12
	s_wait_loadcnt 0x11
	v_mul_f16_e32 v36, v102, v13
	v_mul_f16_e32 v35, v103, v31
	v_fma_f16 v31, v101, v31, -v32
	v_lshrrev_b32_e32 v32, 16, v13
	v_mul_f16_e32 v37, v70, v33
	v_fma_f16 v33, v69, v33, -v34
	v_fmac_f16_e32 v35, v101, v11
	s_delay_alu instid0(VALU_DEP_4)
	v_mul_f16_e32 v11, v102, v32
	v_fma_f16 v32, v100, v32, -v36
	s_wait_loadcnt 0x10
	v_lshrrev_b32_e32 v34, 16, v15
	v_mul_f16_e32 v36, v99, v15
	v_fmac_f16_e32 v37, v69, v12
	v_pack_b32_f16 v12, v35, v31
	v_fmac_f16_e32 v11, v100, v13
	v_mul_f16_e32 v13, v99, v34
	v_fma_f16 v31, v97, v34, -v36
	s_wait_loadcnt 0xf
	v_lshrrev_b32_e32 v34, 16, v16
	v_mul_f16_e32 v35, v98, v16
	v_pack_b32_f16 v11, v11, v32
	v_fmac_f16_e32 v13, v97, v15
	v_pack_b32_f16 v33, v37, v33
	v_mul_f16_e32 v15, v98, v34
	v_fma_f16 v32, v95, v34, -v35
	s_wait_loadcnt 0xe
	v_lshrrev_b32_e32 v34, 16, v17
	v_mul_f16_e32 v35, v96, v17
	ds_store_b32 v61, v11 offset:2352
	v_pack_b32_f16 v11, v13, v31
	v_fmac_f16_e32 v15, v95, v16
	v_mul_f16_e32 v13, v96, v34
	s_wait_loadcnt 0xd
	v_lshrrev_b32_e32 v31, 16, v18
	v_fma_f16 v16, v93, v34, -v35
	v_mul_f16_e32 v34, v92, v18
	ds_store_2addr_b32 v61, v12, v11 offset1:56
	v_pack_b32_f16 v11, v15, v32
	v_fmac_f16_e32 v13, v93, v17
	v_mul_f16_e32 v12, v92, v31
	s_wait_loadcnt 0xc
	v_lshrrev_b32_e32 v15, 16, v19
	v_fma_f16 v17, v90, v31, -v34
	v_mul_f16_e32 v31, v91, v19
	v_pack_b32_f16 v13, v13, v16
	v_fmac_f16_e32 v12, v90, v18
	v_mul_f16_e32 v16, v91, v15
	s_wait_loadcnt 0xb
	v_lshrrev_b32_e32 v18, 16, v20
	v_mul_f16_e32 v32, v89, v20
	v_fma_f16 v15, v88, v15, -v31
	v_pack_b32_f16 v12, v12, v17
	v_fmac_f16_e32 v16, v88, v19
	v_mul_f16_e32 v17, v89, v18
	s_wait_loadcnt 0xa
	v_lshrrev_b32_e32 v19, 16, v21
	v_fma_f16 v18, v86, v18, -v32
	v_mul_f16_e32 v31, v87, v21
	ds_store_2addr_b32 v4, v11, v12 offset0:132 offset1:188
	v_pack_b32_f16 v11, v16, v15
	v_fmac_f16_e32 v17, v86, v20
	v_mul_f16_e32 v12, v87, v19
	s_wait_loadcnt 0x9
	v_lshrrev_b32_e32 v16, 16, v22
	v_fma_f16 v15, v84, v19, -v31
	v_mul_f16_e32 v19, v85, v22
	ds_store_2addr_b32 v61, v13, v11 offset0:112 offset1:168
	v_pack_b32_f16 v11, v17, v18
	v_fmac_f16_e32 v12, v84, v21
	v_mul_f16_e32 v13, v85, v16
	s_wait_loadcnt 0x8
	v_lshrrev_b32_e32 v17, 16, v23
	v_fma_f16 v16, v82, v16, -v19
	v_mul_f16_e32 v18, v83, v23
	v_pack_b32_f16 v12, v12, v15
	v_fmac_f16_e32 v13, v82, v22
	v_mul_f16_e32 v15, v83, v17
	s_wait_loadcnt 0x7
	v_lshrrev_b32_e32 v19, 16, v27
	v_mul_f16_e32 v20, v81, v27
	v_fma_f16 v17, v80, v17, -v18
	v_pack_b32_f16 v13, v13, v16
	v_fmac_f16_e32 v15, v80, v23
	v_mul_f16_e32 v16, v81, v19
	v_fma_f16 v18, v78, v19, -v20
	s_wait_loadcnt 0x6
	v_lshrrev_b32_e32 v19, 16, v28
	v_mul_f16_e32 v20, v79, v28
	ds_store_2addr_b32 v30, v11, v13 offset0:116 offset1:172
	v_pack_b32_f16 v11, v15, v17
	v_fmac_f16_e32 v16, v78, v27
	v_mul_f16_e32 v13, v79, v19
	v_fma_f16 v15, v76, v19, -v20
	s_wait_loadcnt 0x5
	v_lshrrev_b32_e32 v17, 16, v6
	v_mul_f16_e32 v19, v77, v6
	ds_store_2addr_b32 v5, v12, v11 offset0:96 offset1:152
	v_pack_b32_f16 v11, v16, v18
	s_wait_loadcnt 0x4
	v_lshrrev_b32_e32 v16, 16, v29
	v_mul_f16_e32 v12, v77, v17
	v_mul_f16_e32 v18, v74, v29
	v_fma_f16 v17, v75, v17, -v19
	s_wait_loadcnt 0x3
	v_lshrrev_b32_e32 v19, 16, v9
	v_fmac_f16_e32 v13, v76, v28
	v_fmac_f16_e32 v12, v75, v6
	v_mul_f16_e32 v6, v74, v16
	v_fma_f16 v16, v72, v16, -v18
	v_mul_f16_e32 v18, v73, v9
	v_mul_f16_e32 v20, v73, v19
	v_pack_b32_f16 v12, v12, v17
	v_pack_b32_f16 v13, v13, v15
	v_fmac_f16_e32 v6, v72, v29
	v_fma_f16 v15, v71, v19, -v18
	v_fmac_f16_e32 v20, v71, v9
	ds_store_2addr_b32 v14, v11, v12 offset0:100 offset1:156
	v_pack_b32_f16 v6, v6, v16
	s_wait_loadcnt 0x2
	v_lshrrev_b32_e32 v9, 16, v7
	v_mul_f16_e32 v11, v68, v7
	v_pack_b32_f16 v12, v20, v15
	s_wait_loadcnt 0x1
	v_lshrrev_b32_e32 v15, 16, v8
	s_wait_loadcnt 0x0
	v_lshrrev_b32_e32 v16, 16, v10
	v_mul_f16_e32 v17, v68, v9
	v_fma_f16 v9, v67, v9, -v11
	v_mul_f16_e32 v11, v66, v8
	v_mul_f16_e32 v18, v66, v15
	;; [unrolled: 1-line block ×4, first 2 shown]
	v_fmac_f16_e32 v17, v67, v7
	v_fma_f16 v7, v64, v15, -v11
	v_fmac_f16_e32 v18, v64, v8
	v_fmac_f16_e32 v19, v62, v10
	v_fma_f16 v8, v62, v16, -v20
	v_pack_b32_f16 v9, v17, v9
	v_add_nc_u32_e32 v10, 0xe00, v61
	v_pack_b32_f16 v7, v18, v7
	s_delay_alu instid0(VALU_DEP_4)
	v_pack_b32_f16 v8, v19, v8
	ds_store_2addr_b32 v3, v13, v6 offset0:80 offset1:136
	ds_store_2addr_b32 v10, v12, v9 offset0:84 offset1:140
	;; [unrolled: 1-line block ×3, first 2 shown]
	ds_store_b32 v61, v8 offset:4368
	s_and_saveexec_b32 s14, vcc_lo
	s_cbranch_execz .LBB0_3
; %bb.2:
	v_add_co_u32 v0, s2, v0, s2
	s_wait_alu 0xf1ff
	v_add_co_ci_u32_e64 v1, s2, s3, v1, s2
	s_delay_alu instid0(VALU_DEP_2) | instskip(SKIP_1) | instid1(VALU_DEP_2)
	v_add_co_u32 v6, s2, v0, s10
	s_wait_alu 0xf1ff
	v_add_co_ci_u32_e64 v7, s2, s11, v1, s2
	s_clause 0x1
	global_load_b32 v2, v[24:25], off offset:2240
	global_load_b32 v8, v[24:25], off offset:4592
	global_load_b32 v0, v[0:1], off
	global_load_b32 v1, v[6:7], off
	s_wait_loadcnt 0x3
	v_lshrrev_b32_e32 v6, 16, v2
	s_wait_loadcnt 0x2
	v_lshrrev_b32_e32 v7, 16, v8
	;; [unrolled: 2-line block ×4, first 2 shown]
	v_mul_f16_e32 v11, v6, v0
	s_delay_alu instid0(VALU_DEP_3) | instskip(NEXT) | instid1(VALU_DEP_3)
	v_mul_f16_e32 v6, v6, v9
	v_mul_f16_e32 v12, v7, v10
	;; [unrolled: 1-line block ×3, first 2 shown]
	s_delay_alu instid0(VALU_DEP_4) | instskip(NEXT) | instid1(VALU_DEP_4)
	v_fma_f16 v9, v2, v9, -v11
	v_fmac_f16_e32 v6, v2, v0
	s_delay_alu instid0(VALU_DEP_4) | instskip(NEXT) | instid1(VALU_DEP_4)
	v_fmac_f16_e32 v12, v8, v1
	v_fma_f16 v0, v8, v10, -v7
	s_delay_alu instid0(VALU_DEP_3) | instskip(NEXT) | instid1(VALU_DEP_2)
	v_pack_b32_f16 v1, v6, v9
	v_pack_b32_f16 v0, v12, v0
	ds_store_b32 v61, v1 offset:2240
	ds_store_b32 v61, v0 offset:4592
.LBB0_3:
	s_wait_alu 0xfffe
	s_or_b32 exec_lo, exec_lo, s14
	v_add_nc_u32_e32 v16, 0x1000, v61
	global_wb scope:SCOPE_SE
	s_wait_dscnt 0x0
	s_wait_kmcnt 0x0
	s_barrier_signal -1
	s_barrier_wait -1
	global_inv scope:SCOPE_SE
	ds_load_2addr_b32 v[10:11], v61 offset1:56
	ds_load_2addr_b32 v[0:1], v4 offset0:76 offset1:132
	ds_load_2addr_b32 v[8:9], v61 offset0:112 offset1:168
	;; [unrolled: 1-line block ×9, first 2 shown]
                                        ; implicit-def: $vgpr20
                                        ; implicit-def: $vgpr21
	s_and_saveexec_b32 s2, vcc_lo
	s_cbranch_execz .LBB0_5
; %bb.4:
	ds_load_b32 v20, v61 offset:2240
	ds_load_b32 v21, v61 offset:4592
.LBB0_5:
	s_wait_alu 0xfffe
	s_or_b32 exec_lo, exec_lo, s2
	v_add_co_u32 v23, s2, v94, 56
	s_wait_alu 0xf1ff
	v_add_co_ci_u32_e64 v22, null, 0, 0, s2
	s_load_b64 s[0:1], s[0:1], 0x8
	v_add_co_u32 v22, s2, 0x70, v94
	s_wait_dscnt 0x8
	v_pk_add_f16 v34, v10, v0 neg_lo:[0,1] neg_hi:[0,1]
	v_pk_add_f16 v36, v11, v1 neg_lo:[0,1] neg_hi:[0,1]
	s_wait_dscnt 0x6
	v_pk_add_f16 v12, v8, v12 neg_lo:[0,1] neg_hi:[0,1]
	v_add_co_u32 v29, null, 0xa8, v94
	v_pk_add_f16 v13, v9, v13 neg_lo:[0,1] neg_hi:[0,1]
	v_lshlrev_b32_e32 v109, 3, v94
	v_pk_fma_f16 v33, v10, 2.0, v34 op_sel_hi:[1,0,1] neg_lo:[0,0,1] neg_hi:[0,0,1]
	v_lshlrev_b32_e32 v110, 3, v23
	v_pk_fma_f16 v35, v11, 2.0, v36 op_sel_hi:[1,0,1] neg_lo:[0,0,1] neg_hi:[0,0,1]
	;; [unrolled: 2-line block ×3, first 2 shown]
	v_add_co_u32 v30, null, 0xe0, v94
	s_wait_dscnt 0x4
	v_pk_add_f16 v18, v6, v18 neg_lo:[0,1] neg_hi:[0,1]
	s_wait_alu 0xf1ff
	v_add_co_ci_u32_e64 v27, null, 0, 0, s2
	v_add_co_u32 v31, null, 0x118, v94
	v_add_co_u32 v32, null, 0x150, v94
	v_lshlrev_b32_e32 v27, 1, v94
	v_add_co_u32 v39, null, 0x230, v94
	v_pk_add_f16 v41, v7, v19 neg_lo:[0,1] neg_hi:[0,1]
	s_wait_dscnt 0x0
	v_pk_add_f16 v1, v20, v21 neg_lo:[0,1] neg_hi:[0,1]
	v_pk_add_f16 v14, v4, v14 neg_lo:[0,1] neg_hi:[0,1]
	global_wb scope:SCOPE_SE
	s_wait_kmcnt 0x0
	s_barrier_signal -1
	s_barrier_wait -1
	global_inv scope:SCOPE_SE
	ds_store_b64 v109, v[33:34]
	ds_store_b64 v110, v[35:36]
	;; [unrolled: 1-line block ×3, first 2 shown]
	v_lshlrev_b32_e32 v113, 3, v29
	v_pk_fma_f16 v12, v9, 2.0, v13 op_sel_hi:[1,0,1] neg_lo:[0,0,1] neg_hi:[0,0,1]
	v_pk_add_f16 v19, v5, v15 neg_lo:[0,1] neg_hi:[0,1]
	v_pk_add_f16 v21, v3, v17 neg_lo:[0,1] neg_hi:[0,1]
	v_lshlrev_b32_e32 v115, 3, v30
	v_pk_fma_f16 v17, v6, 2.0, v18 op_sel_hi:[1,0,1] neg_lo:[0,0,1] neg_hi:[0,0,1]
	v_pk_add_f16 v16, v2, v16 neg_lo:[0,1] neg_hi:[0,1]
	v_pk_fma_f16 v0, v20, 2.0, v1 op_sel_hi:[1,0,1] neg_lo:[0,0,1] neg_hi:[0,0,1]
	v_lshlrev_b32_e32 v34, 1, v23
	v_lshlrev_b32_e32 v33, 1, v22
	;; [unrolled: 1-line block ×4, first 2 shown]
	v_pk_fma_f16 v40, v7, 2.0, v41 op_sel_hi:[1,0,1] neg_lo:[0,0,1] neg_hi:[0,0,1]
	ds_store_b64 v113, v[12:13]
	v_lshlrev_b32_e32 v38, 1, v30
	v_lshlrev_b32_e32 v36, 1, v31
	;; [unrolled: 1-line block ×4, first 2 shown]
	v_pk_fma_f16 v13, v4, 2.0, v14 op_sel_hi:[1,0,1] neg_lo:[0,0,1] neg_hi:[0,0,1]
	v_add_nc_u32_e32 v128, 0x310, v27
	v_lshlrev_b32_e32 v37, 1, v63
	v_lshlrev_b32_e32 v117, 3, v63
	v_add_nc_u32_e32 v129, 0x3f0, v27
	v_lshlrev_b32_e32 v116, 3, v39
	ds_store_b64 v115, v[17:18]
	v_pk_fma_f16 v18, v5, 2.0, v19 op_sel_hi:[1,0,1] neg_lo:[0,0,1] neg_hi:[0,0,1]
	v_lshlrev_b32_e32 v4, 2, v27
	v_pk_fma_f16 v15, v2, 2.0, v16 op_sel_hi:[1,0,1] neg_lo:[0,0,1] neg_hi:[0,0,1]
	v_pk_fma_f16 v20, v3, 2.0, v21 op_sel_hi:[1,0,1] neg_lo:[0,0,1] neg_hi:[0,0,1]
	ds_store_b64 v112, v[40:41]
	ds_store_b64 v114, v[13:14]
	ds_store_b64 v4, v[18:19] offset:3136
	ds_store_b64 v117, v[15:16]
	ds_store_b64 v4, v[20:21] offset:4032
	s_and_saveexec_b32 s2, vcc_lo
	s_cbranch_execz .LBB0_7
; %bb.6:
	ds_store_b64 v116, v[0:1]
.LBB0_7:
	s_wait_alu 0xfffe
	s_or_b32 exec_lo, exec_lo, s2
	v_add_nc_u32_e32 v6, 0x800, v61
	v_add_nc_u32_e32 v8, 0xc00, v61
	;; [unrolled: 1-line block ×5, first 2 shown]
	global_wb scope:SCOPE_SE
	s_wait_dscnt 0x0
	s_barrier_signal -1
	s_barrier_wait -1
	global_inv scope:SCOPE_SE
	ds_load_2addr_b32 v[2:3], v61 offset1:56
	ds_load_2addr_b32 v[12:13], v6 offset0:76 offset1:132
	ds_load_2addr_b32 v[4:5], v61 offset0:112 offset1:168
	ds_load_2addr_b32 v[16:17], v6 offset0:188 offset1:244
	ds_load_2addr_b32 v[6:7], v7 offset0:96 offset1:152
	ds_load_2addr_b32 v[20:21], v8 offset0:44 offset1:100
	ds_load_2addr_b32 v[10:11], v9 offset0:80 offset1:136
	ds_load_2addr_b32 v[18:19], v8 offset0:156 offset1:212
	ds_load_2addr_b32 v[8:9], v9 offset0:192 offset1:248
	ds_load_2addr_b32 v[14:15], v14 offset0:12 offset1:68
	s_and_saveexec_b32 s2, vcc_lo
	s_cbranch_execz .LBB0_9
; %bb.8:
	ds_load_b32 v0, v61 offset:2240
	ds_load_b32 v1, v61 offset:4592
.LBB0_9:
	s_wait_alu 0xfffe
	s_or_b32 exec_lo, exec_lo, s2
	v_and_b32_e32 v105, 1, v94
	v_lshlrev_b32_e32 v104, 1, v39
	s_wait_dscnt 0x8
	v_lshrrev_b32_e32 v43, 16, v13
	s_wait_dscnt 0x6
	v_lshrrev_b32_e32 v45, 16, v16
	v_lshrrev_b32_e32 v47, 16, v17
	v_lshlrev_b32_e32 v40, 2, v105
	v_and_or_b32 v39, 0x7c, v27, v105
	v_and_or_b32 v108, 0xfc, v34, v105
	v_and_or_b32 v118, 0x1fc, v33, v105
	v_and_or_b32 v120, 0x3fc, v38, v105
	global_load_b32 v106, v40, s[0:1]
	v_lshrrev_b32_e32 v40, 16, v12
	v_and_or_b32 v121, 0x2fc, v36, v105
	v_and_or_b32 v131, 0x3fc, v128, v105
	;; [unrolled: 1-line block ×6, first 2 shown]
	s_wait_dscnt 0x4
	v_lshrrev_b32_e32 v49, 16, v20
	v_lshrrev_b32_e32 v51, 16, v21
	s_wait_dscnt 0x2
	v_lshrrev_b32_e32 v53, 16, v18
	v_lshrrev_b32_e32 v55, 16, v19
	;; [unrolled: 3-line block ×3, first 2 shown]
	v_lshrrev_b32_e32 v60, 16, v1
	v_lshlrev_b32_e32 v123, 2, v39
	v_lshlrev_b32_e32 v124, 2, v108
	;; [unrolled: 1-line block ×10, first 2 shown]
	v_lshrrev_b32_e32 v41, 16, v2
	v_lshrrev_b32_e32 v42, 16, v3
	;; [unrolled: 1-line block ×11, first 2 shown]
	global_wb scope:SCOPE_SE
	s_wait_loadcnt 0x0
	s_barrier_signal -1
	s_barrier_wait -1
	global_inv scope:SCOPE_SE
	v_lshrrev_b32_e32 v130, 16, v106
	s_delay_alu instid0(VALU_DEP_1)
	v_mul_f16_e64 v39, v40, v130
	v_mul_f16_e64 v108, v12, v130
	;; [unrolled: 1-line block ×22, first 2 shown]
	v_fma_f16 v12, v12, v106, -v39
	v_fmac_f16_e32 v108, v40, v106
	v_fma_f16 v13, v13, v106, -v131
	v_fmac_f16_e64 v132, v43, v106
	v_fma_f16 v16, v16, v106, -v133
	v_fmac_f16_e64 v134, v45, v106
	;; [unrolled: 2-line block ×10, first 2 shown]
	v_sub_f16_e32 v12, v2, v12
	v_sub_f16_e32 v43, v41, v108
	;; [unrolled: 1-line block ×3, first 2 shown]
	v_sub_f16_e64 v45, v42, v132
	v_sub_f16_e32 v16, v4, v16
	v_sub_f16_e64 v47, v44, v134
	v_sub_f16_e32 v17, v5, v17
	;; [unrolled: 2-line block ×9, first 2 shown]
	v_sub_f16_e64 v40, v107, v150
	v_fma_f16 v1, v2, 2.0, -v12
	v_fma_f16 v2, v41, 2.0, -v43
	;; [unrolled: 1-line block ×22, first 2 shown]
	v_pack_b32_f16 v0, v12, v43
	v_pack_b32_f16 v1, v1, v2
	v_pack_b32_f16 v12, v13, v45
	v_pack_b32_f16 v2, v3, v41
	v_pack_b32_f16 v13, v16, v47
	v_pack_b32_f16 v3, v4, v42
	v_pack_b32_f16 v16, v17, v49
	v_pack_b32_f16 v4, v5, v44
	v_pack_b32_f16 v17, v51, v53
	v_pack_b32_f16 v5, v6, v46
	v_pack_b32_f16 v43, v55, v57
	v_pack_b32_f16 v18, v18, v59
	v_pack_b32_f16 v19, v19, v60
	v_pack_b32_f16 v14, v14, v108
	v_pack_b32_f16 v15, v15, v131
	v_pack_b32_f16 v6, v7, v48
	v_pack_b32_f16 v7, v10, v50
	v_pack_b32_f16 v10, v11, v52
	v_pack_b32_f16 v8, v8, v54
	v_pack_b32_f16 v9, v9, v56
	ds_store_2addr_b32 v123, v1, v0 offset1:2
	ds_store_2addr_b32 v124, v2, v12 offset1:2
	;; [unrolled: 1-line block ×10, first 2 shown]
	s_and_saveexec_b32 s2, vcc_lo
	s_cbranch_execz .LBB0_11
; %bb.10:
	v_and_or_b32 v0, 0x4fc, v104, v105
	v_perm_b32 v1, v21, v20, 0x5040100
	v_perm_b32 v2, v40, v39, 0x5040100
	s_delay_alu instid0(VALU_DEP_3)
	v_lshlrev_b32_e32 v0, 2, v0
	ds_store_2addr_b32 v0, v1, v2 offset1:2
.LBB0_11:
	s_wait_alu 0xfffe
	s_or_b32 exec_lo, exec_lo, s2
	v_add_nc_u32_e32 v4, 0x800, v61
	v_add_nc_u32_e32 v6, 0xc00, v61
	;; [unrolled: 1-line block ×5, first 2 shown]
	global_wb scope:SCOPE_SE
	s_wait_dscnt 0x0
	s_barrier_signal -1
	s_barrier_wait -1
	global_inv scope:SCOPE_SE
	ds_load_2addr_b32 v[0:1], v61 offset1:56
	ds_load_2addr_b32 v[10:11], v4 offset0:76 offset1:132
	ds_load_2addr_b32 v[2:3], v61 offset0:112 offset1:168
	;; [unrolled: 1-line block ×9, first 2 shown]
	s_and_saveexec_b32 s2, vcc_lo
	s_cbranch_execz .LBB0_13
; %bb.12:
	ds_load_b32 v20, v61 offset:2240
	ds_load_b32 v39, v61 offset:4592
	s_wait_dscnt 0x1
	v_lshrrev_b32_e32 v21, 16, v20
	s_wait_dscnt 0x0
	v_lshrrev_b32_e32 v40, 16, v39
.LBB0_13:
	s_wait_alu 0xfffe
	s_or_b32 exec_lo, exec_lo, s2
	v_and_b32_e32 v107, 3, v94
	s_wait_dscnt 0x8
	v_lshrrev_b32_e32 v42, 16, v10
	v_lshrrev_b32_e32 v44, 16, v11
	s_wait_dscnt 0x6
	v_lshrrev_b32_e32 v46, 16, v14
	v_lshrrev_b32_e32 v48, 16, v15
	v_lshlrev_b32_e32 v41, 2, v107
	v_and_or_b32 v27, 0x78, v27, v107
	v_and_or_b32 v28, 0x1f8, v28, v107
	;; [unrolled: 1-line block ×4, first 2 shown]
	global_load_b32 v108, v41, s[0:1] offset:8
	v_and_or_b32 v36, 0x2f8, v36, v107
	v_and_or_b32 v35, 0x3f8, v35, v107
	;; [unrolled: 1-line block ×4, first 2 shown]
	s_wait_dscnt 0x4
	v_lshrrev_b32_e32 v50, 16, v18
	v_lshrrev_b32_e32 v52, 16, v19
	s_wait_dscnt 0x2
	v_lshrrev_b32_e32 v54, 16, v16
	v_lshrrev_b32_e32 v56, 16, v17
	;; [unrolled: 3-line block ×3, first 2 shown]
	v_lshlrev_b32_e32 v137, 2, v27
	v_lshlrev_b32_e32 v140, 2, v28
	;; [unrolled: 1-line block ×8, first 2 shown]
	v_lshrrev_b32_e32 v41, 16, v0
	v_lshrrev_b32_e32 v43, 16, v1
	;; [unrolled: 1-line block ×10, first 2 shown]
	v_and_or_b32 v134, 0x3f8, v128, v107
	v_and_or_b32 v136, 0x7f8, v129, v107
	global_wb scope:SCOPE_SE
	s_wait_loadcnt 0x0
	s_barrier_signal -1
	s_barrier_wait -1
	v_lshlrev_b32_e32 v134, 2, v134
	v_lshlrev_b32_e32 v136, 2, v136
	global_inv scope:SCOPE_SE
	v_lshrrev_b32_e32 v131, 16, v108
	s_delay_alu instid0(VALU_DEP_1)
	v_mul_f16_e64 v27, v42, v131
	v_mul_f16_e64 v28, v10, v131
	;; [unrolled: 1-line block ×21, first 2 shown]
	v_fma_f16 v10, v10, v108, -v27
	v_fmac_f16_e32 v28, v42, v108
	v_fma_f16 v11, v11, v108, -v33
	v_fmac_f16_e32 v34, v44, v108
	;; [unrolled: 2-line block ×4, first 2 shown]
	v_fma_f16 v18, v18, v108, -v142
	v_fmac_f16_e64 v143, v50, v108
	v_mul_f16_e64 v155, v39, v131
	v_fma_f16 v19, v19, v108, -v144
	v_fmac_f16_e64 v145, v52, v108
	v_fma_f16 v16, v16, v108, -v146
	v_fmac_f16_e64 v147, v54, v108
	;; [unrolled: 2-line block ×5, first 2 shown]
	v_fma_f16 v27, v39, v108, -v154
	v_sub_f16_e32 v10, v0, v10
	v_sub_f16_e32 v28, v41, v28
	;; [unrolled: 1-line block ×9, first 2 shown]
	v_sub_f16_e64 v36, v49, v143
	v_fmac_f16_e64 v155, v40, v108
	v_sub_f16_e32 v19, v5, v19
	v_sub_f16_e64 v37, v51, v145
	v_sub_f16_e32 v16, v8, v16
	v_sub_f16_e64 v38, v53, v147
	;; [unrolled: 2-line block ×5, first 2 shown]
	v_sub_f16_e64 v151, v20, v27
	v_fma_f16 v0, v0, 2.0, -v10
	v_fma_f16 v27, v41, 2.0, -v28
	;; [unrolled: 1-line block ×10, first 2 shown]
	v_sub_f16_e64 v152, v21, v155
	v_fma_f16 v5, v5, 2.0, -v19
	v_fma_f16 v46, v51, 2.0, -v37
	;; [unrolled: 1-line block ×10, first 2 shown]
	v_pack_b32_f16 v10, v10, v28
	v_pack_b32_f16 v0, v0, v27
	v_pack_b32_f16 v11, v11, v33
	v_pack_b32_f16 v1, v1, v41
	v_pack_b32_f16 v14, v14, v34
	v_pack_b32_f16 v2, v2, v43
	v_pack_b32_f16 v15, v15, v35
	v_pack_b32_f16 v3, v3, v44
	v_pack_b32_f16 v18, v18, v36
	v_pack_b32_f16 v4, v4, v45
	v_pack_b32_f16 v19, v19, v37
	v_pack_b32_f16 v16, v16, v38
	v_pack_b32_f16 v17, v17, v39
	v_pack_b32_f16 v12, v12, v40
	v_pack_b32_f16 v13, v13, v42
	v_pack_b32_f16 v5, v5, v46
	v_pack_b32_f16 v8, v8, v47
	v_pack_b32_f16 v9, v9, v48
	v_pack_b32_f16 v6, v6, v49
	v_pack_b32_f16 v7, v7, v50
	ds_store_2addr_b32 v137, v0, v10 offset1:4
	ds_store_2addr_b32 v138, v1, v11 offset1:4
	;; [unrolled: 1-line block ×10, first 2 shown]
	s_and_saveexec_b32 s2, vcc_lo
	s_cbranch_execz .LBB0_15
; %bb.14:
	v_fma_f16 v0, v20, 2.0, -v151
	v_and_or_b32 v1, 0x4f8, v104, v107
	v_fma_f16 v2, v21, 2.0, -v152
	s_delay_alu instid0(VALU_DEP_2) | instskip(NEXT) | instid1(VALU_DEP_2)
	v_lshlrev_b32_e32 v1, 2, v1
	v_pack_b32_f16 v0, v0, v2
	v_perm_b32 v2, v152, v151, 0x5040100
	ds_store_2addr_b32 v1, v0, v2 offset1:4
.LBB0_15:
	s_wait_alu 0xfffe
	s_or_b32 exec_lo, exec_lo, s2
	v_and_b32_e32 v0, 7, v94
	global_wb scope:SCOPE_SE
	s_wait_dscnt 0x0
	s_barrier_signal -1
	s_barrier_wait -1
	global_inv scope:SCOPE_SE
	v_lshlrev_b32_e32 v1, 3, v0
	v_add_nc_u32_e32 v53, 0x400, v61
	v_add_nc_u32_e32 v45, 0x800, v61
	;; [unrolled: 1-line block ×4, first 2 shown]
	global_load_b64 v[27:28], v1, s[0:1] offset:24
	ds_load_b32 v1, v61 offset:4480
	ds_load_2addr_b32 v[2:3], v53 offset0:80 offset1:136
	ds_load_2addr_b32 v[4:5], v45 offset0:160 offset1:216
	;; [unrolled: 1-line block ×4, first 2 shown]
	ds_load_2addr_b32 v[10:11], v61 offset1:56
	v_add_nc_u32_e32 v47, 0xe00, v61
	v_lshrrev_b32_e32 v29, 3, v29
	v_lshrrev_b32_e32 v30, 3, v30
	;; [unrolled: 1-line block ×4, first 2 shown]
	s_delay_alu instid0(VALU_DEP_4) | instskip(NEXT) | instid1(VALU_DEP_4)
	v_mul_u32_u24_e32 v29, 24, v29
	v_mul_u32_u24_e32 v30, 24, v30
	s_delay_alu instid0(VALU_DEP_4) | instskip(NEXT) | instid1(VALU_DEP_4)
	v_mul_u32_u24_e32 v31, 24, v31
	v_mul_u32_u24_e32 v32, 24, v32
	s_delay_alu instid0(VALU_DEP_4) | instskip(NEXT) | instid1(VALU_DEP_4)
	v_or_b32_e32 v29, v29, v0
	v_or_b32_e32 v30, v30, v0
	s_delay_alu instid0(VALU_DEP_4)
	v_or_b32_e32 v31, v31, v0
	s_wait_dscnt 0x5
	v_lshrrev_b32_e32 v12, 16, v1
	s_wait_dscnt 0x4
	v_lshrrev_b32_e32 v20, 16, v2
	;; [unrolled: 2-line block ×5, first 2 shown]
	v_lshrrev_b32_e32 v13, 16, v3
	v_lshrrev_b32_e32 v15, 16, v6
	s_wait_dscnt 0x0
	v_lshrrev_b32_e32 v40, 16, v10
	v_lshrrev_b32_e32 v58, 16, v4
	v_lshlrev_b32_e32 v148, 2, v29
	s_wait_loadcnt 0x0
	v_lshrrev_b32_e32 v143, 16, v27
	v_lshrrev_b32_e32 v142, 16, v28
	s_delay_alu instid0(VALU_DEP_2) | instskip(NEXT) | instid1(VALU_DEP_2)
	v_mul_f16_e64 v18, v14, v143
	v_mul_f16_e64 v19, v12, v142
	v_mul_f16_e64 v21, v5, v143
	v_mul_f16_e64 v33, v1, v142
	v_mul_f16_e64 v34, v17, v142
	v_fma_f16 v5, v5, v27, -v18
	v_fma_f16 v18, v1, v28, -v19
	v_fmac_f16_e32 v21, v14, v27
	v_fmac_f16_e32 v33, v12, v28
	v_mul_f16_e64 v19, v16, v143
	v_mul_f16_e64 v14, v8, v143
	v_add_f16_e32 v12, v5, v18
	v_add_f16_e32 v35, v2, v5
	;; [unrolled: 1-line block ×3, first 2 shown]
	v_sub_f16_e32 v5, v5, v18
	v_mul_f16_e64 v1, v13, v143
	v_fmac_f16_e32 v2, -0.5, v12
	v_sub_f16_e32 v12, v21, v33
	v_add_f16_e32 v21, v20, v21
	v_fmac_f16_e32 v20, -0.5, v36
	v_mul_f16_e64 v36, v7, v142
	v_fmac_f16_e32 v14, v16, v27
	v_fmamk_f16 v16, v12, 0x3aee, v2
	v_fmac_f16_e32 v2, 0xbaee, v12
	v_fmamk_f16 v37, v5, 0xbaee, v20
	v_fmac_f16_e32 v20, 0x3aee, v5
	v_fma_f16 v8, v8, v27, -v19
	v_fma_f16 v19, v7, v28, -v34
	v_mul_f16_e64 v5, v3, v143
	v_fmac_f16_e32 v36, v17, v28
	v_fma_f16 v1, v3, v27, -v1
	v_pack_b32_f16 v3, v2, v20
	v_add_f16_e32 v2, v8, v19
	v_mul_f16_e64 v7, v15, v142
	v_lshrrev_b32_e32 v12, 16, v11
	v_add_f16_e32 v17, v11, v8
	v_sub_f16_e32 v8, v8, v19
	v_fmac_f16_e32 v11, -0.5, v2
	v_add_f16_e32 v2, v14, v36
	v_fma_f16 v7, v6, v28, -v7
	v_add_f16_e32 v20, v12, v14
	v_mul_f16_e64 v6, v6, v142
	v_fmac_f16_e32 v5, v13, v27
	v_fmac_f16_e32 v12, -0.5, v2
	v_sub_f16_e32 v2, v14, v36
	v_mul_f16_e64 v59, v58, v143
	v_fmac_f16_e32 v6, v15, v28
	v_sub_f16_e32 v15, v1, v7
	v_fmamk_f16 v34, v8, 0xbaee, v12
	v_fmamk_f16 v14, v2, 0x3aee, v11
	v_fmac_f16_e32 v11, 0xbaee, v2
	v_add_f16_e32 v2, v1, v7
	v_fmac_f16_e32 v12, 0x3aee, v8
	v_add_f16_e32 v8, v40, v5
	v_sub_f16_e32 v41, v5, v6
	v_fma_f16 v59, v4, v27, -v59
	v_fma_f16 v38, -0.5, v2, v10
	v_add_f16_e32 v2, v10, v1
	v_pack_b32_f16 v39, v11, v12
	v_mul_f16_e64 v4, v4, v143
	v_add_f16_e32 v17, v17, v19
	v_add_f16_e32 v19, v20, v36
	;; [unrolled: 1-line block ×5, first 2 shown]
	v_lshrrev_b32_e32 v6, 3, v94
	v_fmac_f16_e32 v4, v58, v27
	v_add_f16_e32 v18, v35, v18
	v_fmac_f16_e32 v40, -0.5, v2
	v_pack_b32_f16 v42, v1, v5
	v_mul_u32_u24_e32 v2, 24, v6
	v_fmamk_f16 v6, v41, 0x3aee, v38
	v_add_f16_e32 v21, v21, v33
	v_fmamk_f16 v1, v15, 0xbaee, v40
	v_fmac_f16_e32 v40, 0x3aee, v15
	v_or_b32_e32 v2, v2, v0
	v_fmac_f16_e32 v38, 0xbaee, v41
	v_pack_b32_f16 v17, v17, v19
	v_pack_b32_f16 v43, v6, v1
	v_pack_b32_f16 v14, v14, v34
	v_lshlrev_b32_e32 v144, 2, v2
	ds_load_2addr_b32 v[1:2], v61 offset0:112 offset1:168
	ds_load_2addr_b32 v[5:6], v51 offset0:128 offset1:184
	;; [unrolled: 1-line block ×5, first 2 shown]
	global_wb scope:SCOPE_SE
	s_wait_dscnt 0x0
	s_barrier_signal -1
	s_barrier_wait -1
	global_inv scope:SCOPE_SE
	ds_store_2addr_b32 v144, v42, v43 offset1:8
	v_lshrrev_b32_e32 v42, 3, v23
	v_lshrrev_b32_e32 v43, 3, v22
	s_delay_alu instid0(VALU_DEP_2) | instskip(NEXT) | instid1(VALU_DEP_2)
	v_mul_u32_u24_e32 v42, 24, v42
	v_mul_u32_u24_e32 v43, 24, v43
	s_delay_alu instid0(VALU_DEP_2) | instskip(NEXT) | instid1(VALU_DEP_2)
	v_or_b32_e32 v42, v42, v0
	v_or_b32_e32 v43, v43, v0
	;; [unrolled: 1-line block ×3, first 2 shown]
	v_lshrrev_b32_e32 v32, 16, v9
	v_lshrrev_b32_e32 v48, 16, v5
	;; [unrolled: 1-line block ×5, first 2 shown]
	v_mul_f16_e64 v44, v32, v143
	v_mul_f16_e64 v49, v48, v142
	;; [unrolled: 1-line block ×4, first 2 shown]
	v_lshrrev_b32_e32 v146, 16, v13
	v_fma_f16 v44, v9, v27, -v44
	v_mul_f16_e64 v9, v9, v143
	v_fma_f16 v49, v5, v28, -v49
	v_fma_f16 v52, v6, v28, -v52
	v_mul_f16_e64 v5, v5, v142
	v_mul_f16_e64 v6, v6, v142
	v_fma_f16 v55, v7, v27, -v55
	v_mul_f16_e64 v7, v7, v143
	v_mul_f16_e64 v57, v56, v143
	v_lshrrev_b32_e32 v60, 16, v12
	v_mul_f16_e64 v147, v146, v142
	v_fmac_f16_e32 v9, v32, v27
	v_fmac_f16_e32 v5, v48, v28
	;; [unrolled: 1-line block ×4, first 2 shown]
	v_add_f16_e32 v32, v55, v52
	v_lshrrev_b32_e32 v48, 16, v2
	v_fma_f16 v57, v8, v27, -v57
	v_mul_f16_e64 v8, v8, v143
	v_mul_f16_e64 v145, v60, v142
	v_fma_f16 v147, v13, v28, -v147
	v_mul_f16_e64 v13, v13, v142
	v_add_f16_e32 v50, v2, v55
	v_fmac_f16_e32 v2, -0.5, v32
	v_add_f16_e32 v32, v7, v6
	v_add_f16_e32 v54, v48, v7
	v_sub_f16_e32 v7, v7, v6
	v_fma_f16 v145, v12, v28, -v145
	v_mul_f16_e64 v12, v12, v142
	v_fmac_f16_e32 v8, v56, v27
	v_fmac_f16_e64 v13, v146, v28
	v_fmac_f16_e32 v48, -0.5, v32
	v_fmamk_f16 v32, v7, 0x3aee, v2
	v_fmac_f16_e32 v2, 0xbaee, v7
	v_sub_f16_e32 v7, v55, v52
	v_add_f16_e64 v56, v59, v147
	v_lshrrev_b32_e32 v58, 16, v11
	v_fmac_f16_e32 v12, v60, v28
	v_add_f16_e32 v60, v11, v59
	v_fmamk_f16 v55, v7, 0xbaee, v48
	v_fmac_f16_e32 v48, 0x3aee, v7
	v_fmac_f16_e32 v11, -0.5, v56
	v_add_f16_e32 v56, v4, v13
	v_add_f16_e64 v146, v58, v4
	v_sub_f16_e32 v4, v4, v13
	v_pack_b32_f16 v2, v2, v48
	v_lshrrev_b32_e32 v48, 16, v1
	v_fmac_f16_e32 v58, -0.5, v56
	v_add_f16_e32 v7, v44, v49
	v_fmamk_f16 v56, v4, 0x3aee, v11
	v_fmac_f16_e32 v11, 0xbaee, v4
	v_sub_f16_e64 v4, v59, v147
	v_add_f16_e32 v36, v48, v9
	v_fma_f16 v7, -0.5, v7, v1
	v_add_f16_e32 v1, v1, v44
	v_sub_f16_e32 v20, v44, v49
	v_fmamk_f16 v59, v4, 0xbaee, v58
	v_fmac_f16_e32 v58, 0x3aee, v4
	v_add_f16_e64 v4, v57, v145
	v_add_f16_e32 v44, v9, v5
	v_sub_f16_e32 v9, v9, v5
	v_add_f16_e32 v5, v36, v5
	v_pack_b32_f16 v11, v11, v58
	v_lshrrev_b32_e32 v58, 16, v10
	v_add_f16_e32 v36, v50, v52
	v_add_f16_e32 v50, v8, v12
	v_fma_f16 v4, -0.5, v4, v10
	v_add_f16_e32 v10, v10, v57
	v_add_f16_e32 v1, v1, v49
	v_fmac_f16_e32 v48, -0.5, v44
	v_sub_f16_e64 v44, v57, v145
	v_add_f16_e32 v49, v58, v8
	v_sub_f16_e32 v8, v8, v12
	v_fmac_f16_e32 v58, -0.5, v50
	v_add_f16_e64 v10, v10, v145
	v_add_f16_e64 v13, v146, v13
	v_add_f16_e32 v12, v49, v12
	v_add_f16_e64 v49, v60, v147
	v_fmamk_f16 v15, v9, 0x3aee, v7
	v_fmac_f16_e32 v7, 0xbaee, v9
	v_fmamk_f16 v9, v20, 0xbaee, v48
	v_fmac_f16_e32 v48, 0x3aee, v20
	;; [unrolled: 2-line block ×4, first 2 shown]
	v_pack_b32_f16 v10, v10, v12
	v_pack_b32_f16 v12, v49, v13
	;; [unrolled: 1-line block ×5, first 2 shown]
	v_and_b32_e32 v4, 0xff, v94
	v_add_f16_e32 v6, v54, v6
	v_pack_b32_f16 v1, v1, v5
	v_pack_b32_f16 v5, v38, v40
	v_lshlrev_b32_e32 v150, 2, v42
	v_mul_lo_u16 v4, 0xab, v4
	v_pack_b32_f16 v19, v36, v6
	v_pack_b32_f16 v9, v15, v9
	ds_store_b32 v144, v5 offset:64
	v_lshlrev_b32_e32 v149, 2, v43
	v_lshrrev_b16 v20, 12, v4
	v_pack_b32_f16 v7, v7, v48
	v_pack_b32_f16 v15, v32, v55
	v_lshlrev_b32_e32 v146, 2, v0
	v_pack_b32_f16 v0, v16, v37
	v_mul_lo_u16 v4, v20, 24
	v_pack_b32_f16 v21, v56, v59
	v_lshlrev_b32_e32 v147, 2, v30
	v_lshlrev_b32_e32 v145, 2, v31
	ds_store_2addr_b32 v150, v17, v14 offset1:8
	ds_store_b32 v150, v39 offset:64
	ds_store_2addr_b32 v149, v1, v9 offset1:8
	ds_store_b32 v149, v7 offset:64
	;; [unrolled: 2-line block ×6, first 2 shown]
	v_sub_nc_u16 v4, v94, v4
	global_wb scope:SCOPE_SE
	s_wait_dscnt 0x0
	s_barrier_signal -1
	s_barrier_wait -1
	global_inv scope:SCOPE_SE
	v_and_b32_e32 v4, 0xff, v4
	v_and_b32_e32 v7, 0xffff, v20
	s_delay_alu instid0(VALU_DEP_2)
	v_mad_co_u64_u32 v[5:6], null, v4, 24, s[0:1]
	s_clause 0x1
	global_load_b128 v[0:3], v[5:6], off offset:88
	global_load_b64 v[29:30], v[5:6], off offset:104
	ds_load_2addr_b32 v[8:9], v61 offset0:112 offset1:168
	ds_load_2addr_b32 v[10:11], v47 offset0:112 offset1:168
	v_and_b32_e32 v5, 0xff, v23
	v_and_b32_e32 v6, 0xff, v22
	ds_load_2addr_b32 v[18:19], v53 offset0:80 offset1:136
	v_mul_u32_u24_e32 v7, 0xa8, v7
	ds_load_2addr_b32 v[20:21], v53 offset0:192 offset1:248
	v_mul_lo_u16 v5, 0xab, v5
	v_mul_lo_u16 v6, 0xab, v6
	ds_load_b32 v174, v61 offset:4480
	v_add_lshl_u32 v153, v7, v4, 2
	v_lshrrev_b16 v17, 12, v5
	v_lshrrev_b16 v16, 12, v6
	s_delay_alu instid0(VALU_DEP_2) | instskip(NEXT) | instid1(VALU_DEP_2)
	v_mul_lo_u16 v5, v17, 24
	v_mul_lo_u16 v6, v16, 24
	v_and_b32_e32 v17, 0xffff, v17
	s_wait_dscnt 0x4
	v_lshrrev_b32_e32 v12, 16, v9
	s_wait_dscnt 0x3
	v_lshrrev_b32_e32 v14, 16, v10
	v_sub_nc_u16 v5, v23, v5
	v_sub_nc_u16 v6, v22, v6
	ds_load_2addr_b32 v[22:23], v45 offset0:160 offset1:216
	s_wait_dscnt 0x3
	v_lshrrev_b32_e32 v4, 16, v18
	v_mul_u32_u24_e32 v17, 0xa8, v17
	v_and_b32_e32 v169, 0xff, v5
	v_and_b32_e32 v172, 0xff, v6
	s_wait_loadcnt 0x1
	v_lshrrev_b32_e32 v155, 16, v0
	s_wait_loadcnt 0x0
	v_lshrrev_b32_e32 v154, 16, v30
	v_lshrrev_b32_e32 v158, 16, v1
	;; [unrolled: 1-line block ×4, first 2 shown]
	v_mul_f16_e64 v13, v9, v155
	v_mul_f16_e64 v15, v10, v154
	;; [unrolled: 1-line block ×3, first 2 shown]
	v_lshrrev_b32_e32 v159, 16, v3
	s_delay_alu instid0(VALU_DEP_4)
	v_fmac_f16_e32 v13, v12, v0
	v_mul_f16_e64 v12, v12, v155
	v_fmac_f16_e32 v15, v14, v30
	v_mul_f16_e64 v14, v14, v154
	;; [unrolled: 2-line block ×3, first 2 shown]
	v_fma_f16 v9, v9, v0, -v12
	v_add_f16_e32 v43, v13, v15
	v_fma_f16 v10, v10, v30, -v14
	v_sub_f16_e32 v44, v13, v15
	v_fma_f16 v4, v18, v1, -v4
	s_delay_alu instid0(VALU_DEP_3)
	v_add_f16_e32 v41, v9, v10
	v_sub_f16_e32 v42, v9, v10
	ds_load_2addr_b32 v[9:10], v51 offset0:16 offset1:72
	s_wait_dscnt 0x0
	v_lshrrev_b32_e32 v12, 16, v10
	v_mul_f16_e64 v13, v10, v157
	s_delay_alu instid0(VALU_DEP_1) | instskip(SKIP_1) | instid1(VALU_DEP_2)
	v_fmac_f16_e32 v13, v12, v29
	v_mul_f16_e64 v12, v12, v157
	v_add_f16_e32 v48, v7, v13
	s_delay_alu instid0(VALU_DEP_2)
	v_fma_f16 v10, v10, v29, -v12
	v_sub_f16_e32 v49, v7, v13
	v_mul_f16_e64 v7, v21, v160
	v_lshrrev_b32_e32 v12, 16, v22
	v_mul_f16_e64 v13, v22, v159
	v_add_f16_e32 v18, v4, v10
	v_sub_f16_e32 v10, v4, v10
	v_lshrrev_b32_e32 v4, 16, v21
	v_add_f16_e32 v15, v48, v43
	v_fmac_f16_e32 v13, v12, v3
	v_mul_f16_e64 v12, v12, v159
	s_delay_alu instid0(VALU_DEP_4) | instskip(SKIP_1) | instid1(VALU_DEP_3)
	v_fmac_f16_e32 v7, v4, v2
	v_mul_f16_e64 v4, v4, v160
	v_fma_f16 v12, v22, v3, -v12
	s_delay_alu instid0(VALU_DEP_2)
	v_fma_f16 v4, v21, v2, -v4
	ds_load_2addr_b32 v[21:22], v61 offset1:56
	v_add_f16_e32 v14, v4, v12
	v_sub_f16_e32 v4, v12, v4
	v_add_f16_e32 v12, v7, v13
	v_sub_f16_e32 v7, v13, v7
	;; [unrolled: 2-line block ×3, first 2 shown]
	v_sub_f16_e32 v56, v42, v4
	v_add_f16_e32 v15, v12, v15
	v_sub_f16_e32 v55, v12, v48
	v_add_f16_e32 v13, v14, v13
	v_sub_f16_e32 v57, v44, v7
	v_sub_f16_e32 v18, v18, v41
	s_wait_dscnt 0x0
	v_lshrrev_b32_e32 v31, 16, v21
	v_add_f16_e32 v21, v21, v13
	s_delay_alu instid0(VALU_DEP_2) | instskip(NEXT) | instid1(VALU_DEP_2)
	v_add_f16_e32 v31, v31, v15
	v_fmamk_f16 v50, v13, 0xbcab, v21
	v_sub_f16_e32 v13, v41, v14
	v_sub_f16_e32 v14, v43, v12
	v_add_f16_e32 v12, v4, v10
	v_fmamk_f16 v52, v15, 0xbcab, v31
	v_pack_b32_f16 v21, v21, v31
	v_sub_f16_e32 v15, v4, v10
	v_add_f16_e32 v4, v7, v49
	v_sub_f16_e32 v31, v7, v49
	v_mul_f16_e64 v156, 0x3a52, v13
	v_mul_f16_e64 v161, 0x3a52, v14
	v_mul_f16_e32 v59, 0xb846, v15
	v_add_f16_e32 v60, v4, v44
	v_mul_f16_e64 v162, 0xb846, v31
	v_fma_f16 v4, 0x2b26, v54, v156
	v_add_f16_e32 v58, v12, v42
	v_fma_f16 v164, 0x3574, v56, v59
	v_sub_f16_e32 v10, v10, v42
	v_fma_f16 v166, 0x3574, v57, v162
	v_add_f16_e64 v167, v4, v50
	v_fma_f16 v4, 0x2b26, v55, v161
	v_fmac_f16_e64 v164, 0x370e, v58
	v_sub_f16_e32 v41, v49, v44
	v_fmac_f16_e64 v166, 0x370e, v60
	v_mul_f16_e32 v42, 0x2b26, v54
	v_add_f16_e64 v170, v4, v52
	s_delay_alu instid0(VALU_DEP_4) | instskip(NEXT) | instid1(VALU_DEP_4)
	v_fma_f16 v44, v41, 0x3b00, -v162
	v_add_f16_e64 v4, v166, v167
	v_mul_f16_e32 v41, 0x3b00, v41
	s_delay_alu instid0(VALU_DEP_4)
	v_sub_f16_e64 v7, v170, v164
	v_fma_f16 v42, v18, 0x39e0, -v42
	v_fma_f16 v18, v18, 0xb9e0, -v156
	v_fmac_f16_e32 v44, 0x370e, v60
	v_fma_f16 v41, v57, 0xb574, -v41
	v_pack_b32_f16 v163, v4, v7
	v_mad_co_u64_u32 v[4:5], null, v169, 24, s[0:1]
	s_clause 0x1
	global_load_b64 v[35:36], v[4:5], off offset:104
	global_load_b128 v[12:15], v[4:5], off offset:88
	v_mad_co_u64_u32 v[4:5], null, v172, 24, s[0:1]
	s_clause 0x1
	global_load_b64 v[31:32], v[4:5], off offset:104
	global_load_b128 v[4:7], v[4:5], off offset:88
	ds_load_2addr_b32 v[33:34], v46 offset0:96 offset1:152
	ds_load_2addr_b32 v[37:38], v45 offset0:48 offset1:104
	;; [unrolled: 1-line block ×3, first 2 shown]
	global_wb scope:SCOPE_SE
	s_wait_loadcnt_dscnt 0x0
	s_barrier_signal -1
	s_barrier_wait -1
	global_inv scope:SCOPE_SE
	ds_store_2addr_b32 v153, v21, v163 offset1:24
	v_sub_f16_e32 v21, v48, v43
	v_fma_f16 v43, v10, 0x3b00, -v59
	v_mul_f16_e32 v10, 0x3b00, v10
	v_mul_f16_e32 v48, 0x2b26, v55
	v_fmac_f16_e32 v41, 0x370e, v60
	v_add_f16_e32 v18, v18, v50
	v_fmac_f16_e32 v43, 0x370e, v58
	v_fma_f16 v10, v56, 0xb574, -v10
	v_fma_f16 v48, v21, 0x39e0, -v48
	;; [unrolled: 1-line block ×3, first 2 shown]
	v_add_f16_e32 v42, v42, v50
	v_add_f16_e32 v49, v41, v18
	v_fmac_f16_e32 v10, 0x370e, v58
	v_add_f16_e32 v48, v48, v52
	v_add_f16_e32 v21, v21, v52
	v_sub_f16_e32 v18, v18, v41
	v_add_lshl_u32 v156, v17, v169, 2
	s_delay_alu instid0(VALU_DEP_4) | instskip(NEXT) | instid1(VALU_DEP_4)
	v_add_f16_e32 v52, v43, v48
	v_sub_f16_e32 v50, v21, v10
	v_sub_f16_e32 v43, v48, v43
	v_add_f16_e32 v10, v10, v21
	v_sub_f16_e64 v48, v167, v166
	s_delay_alu instid0(VALU_DEP_4) | instskip(SKIP_4) | instid1(VALU_DEP_4)
	v_pack_b32_f16 v49, v49, v50
	v_sub_f16_e32 v50, v42, v44
	v_add_f16_e32 v42, v44, v42
	v_pack_b32_f16 v10, v18, v10
	v_lshrrev_b32_e32 v44, 16, v22
	v_pack_b32_f16 v50, v50, v52
	s_delay_alu instid0(VALU_DEP_4)
	v_pack_b32_f16 v21, v42, v43
	v_lshrrev_b32_e32 v42, 16, v11
	ds_store_2addr_b32 v153, v49, v50 offset0:48 offset1:72
	ds_store_2addr_b32 v153, v21, v10 offset0:96 offset1:120
	v_lshrrev_b32_e32 v10, 16, v19
	v_lshrrev_b32_e32 v21, 16, v23
	v_add_f16_e64 v49, v164, v170
	v_lshrrev_b32_e32 v163, 16, v36
	v_lshrrev_b32_e32 v168, 16, v13
	;; [unrolled: 1-line block ×5, first 2 shown]
	v_mul_f16_e64 v43, v42, v163
	v_mul_f16_e64 v18, v10, v168
	;; [unrolled: 1-line block ×3, first 2 shown]
	v_lshrrev_b32_e32 v173, 16, v14
	v_mul_f16_e64 v41, v21, v165
	v_fma_f16 v43, v11, v36, -v43
	v_fma_f16 v18, v19, v13, -v18
	v_mul_f16_e64 v19, v19, v168
	v_mul_f16_e64 v11, v11, v163
	v_fma_f16 v41, v23, v15, -v41
	v_mul_f16_e64 v23, v23, v165
	v_lshrrev_b32_e32 v179, 16, v5
	v_fmac_f16_e32 v19, v10, v13
	v_lshrrev_b32_e32 v10, 16, v33
	v_fmac_f16_e32 v11, v42, v36
	v_mul_f16_e64 v42, v39, v169
	v_fmac_f16_e32 v23, v21, v15
	v_lshrrev_b32_e32 v181, 16, v4
	v_fmac_f16_e32 v17, v10, v12
	v_mul_f16_e64 v10, v10, v171
	v_lshrrev_b32_e32 v180, 16, v6
	v_lshrrev_b32_e32 v176, 16, v7
	;; [unrolled: 1-line block ×4, first 2 shown]
	v_fma_f16 v10, v33, v12, -v10
	v_add_f16_e32 v33, v17, v11
	v_sub_f16_e32 v11, v17, v11
	v_lshrrev_b32_e32 v17, 16, v39
	s_delay_alu instid0(VALU_DEP_4) | instskip(SKIP_2) | instid1(VALU_DEP_4)
	v_add_f16_e32 v21, v10, v43
	v_sub_f16_e32 v10, v10, v43
	v_mul_f16_e64 v43, v37, v173
	v_fmac_f16_e32 v42, v17, v35
	v_mul_f16_e64 v17, v17, v169
	s_delay_alu instid0(VALU_DEP_1) | instskip(NEXT) | instid1(VALU_DEP_1)
	v_fma_f16 v17, v39, v35, -v17
	v_add_f16_e32 v39, v18, v17
	v_sub_f16_e32 v17, v18, v17
	v_add_f16_e32 v18, v19, v42
	v_sub_f16_e32 v19, v19, v42
	v_lshrrev_b32_e32 v42, 16, v37
	s_delay_alu instid0(VALU_DEP_3) | instskip(NEXT) | instid1(VALU_DEP_2)
	v_add_f16_e32 v50, v18, v33
	v_fmac_f16_e32 v43, v42, v14
	v_mul_f16_e64 v42, v42, v173
	s_delay_alu instid0(VALU_DEP_1) | instskip(NEXT) | instid1(VALU_DEP_1)
	v_fma_f16 v37, v37, v14, -v42
	v_add_f16_e32 v42, v37, v41
	v_sub_f16_e32 v37, v41, v37
	v_add_f16_e32 v41, v43, v23
	v_sub_f16_e32 v23, v23, v43
	v_add_f16_e32 v43, v39, v21
	s_delay_alu instid0(VALU_DEP_4) | instskip(NEXT) | instid1(VALU_DEP_4)
	v_sub_f16_e32 v54, v37, v17
	v_add_f16_e32 v50, v41, v50
	s_delay_alu instid0(VALU_DEP_4) | instskip(NEXT) | instid1(VALU_DEP_4)
	v_sub_f16_e32 v56, v23, v19
	v_add_f16_e32 v43, v42, v43
	v_add_f16_e32 v52, v37, v17
	v_sub_f16_e32 v37, v10, v37
	v_add_f16_e32 v44, v44, v50
	v_add_f16_e32 v55, v23, v19
	;; [unrolled: 1-line block ×3, first 2 shown]
	v_sub_f16_e32 v23, v11, v23
	v_mul_f16_e32 v54, 0xb846, v54
	v_fmamk_f16 v50, v50, 0xbcab, v44
	v_mul_f16_e32 v56, 0xb846, v56
	v_fmamk_f16 v43, v43, 0xbcab, v22
	v_pack_b32_f16 v22, v22, v44
	v_pack_b32_f16 v44, v48, v49
	v_sub_f16_e32 v48, v21, v42
	v_sub_f16_e32 v49, v33, v41
	;; [unrolled: 1-line block ×4, first 2 shown]
	v_add_f16_e32 v52, v52, v10
	v_mul_f16_e32 v48, 0x3a52, v48
	v_mul_f16_e32 v49, 0x3a52, v49
	v_add_f16_e32 v55, v55, v11
	v_fmamk_f16 v57, v37, 0x3574, v54
	v_fmamk_f16 v58, v23, 0x3574, v56
	v_fmamk_f16 v59, v42, 0x2b26, v48
	v_fmamk_f16 v60, v41, 0x2b26, v49
	v_sub_f16_e32 v11, v19, v11
	v_fmac_f16_e32 v57, 0x370e, v52
	v_fmac_f16_e32 v58, 0x370e, v55
	v_add_f16_e32 v59, v59, v43
	v_add_f16_e32 v60, v60, v50
	v_sub_f16_e32 v21, v39, v21
	v_sub_f16_e32 v10, v17, v10
	v_mul_f16_e32 v17, 0x2b26, v42
	v_add_f16_e64 v161, v58, v59
	v_sub_f16_e64 v162, v60, v57
	v_sub_f16_e32 v18, v18, v33
	v_fma_f16 v19, v21, 0xb9e0, -v48
	v_fma_f16 v17, v21, 0x39e0, -v17
	;; [unrolled: 1-line block ×3, first 2 shown]
	v_pack_b32_f16 v161, v161, v162
	ds_store_b32 v153, v44 offset:576
	ds_store_2addr_b32 v156, v22, v161 offset1:24
	v_fma_f16 v22, v11, 0x3b00, -v56
	v_mul_f16_e32 v11, 0x3b00, v11
	v_mul_f16_e32 v10, 0x3b00, v10
	v_add_f16_e32 v19, v19, v43
	v_fmac_f16_e32 v21, 0x370e, v52
	v_fmac_f16_e32 v22, 0x370e, v55
	v_fma_f16 v11, v23, 0xb574, -v11
	v_mul_f16_e32 v23, 0x2b26, v41
	v_fma_f16 v10, v37, 0xb574, -v10
	v_add_f16_e32 v17, v17, v43
	s_delay_alu instid0(VALU_DEP_4) | instskip(NEXT) | instid1(VALU_DEP_4)
	v_fmac_f16_e32 v11, 0x370e, v55
	v_fma_f16 v23, v18, 0x39e0, -v23
	v_fma_f16 v18, v18, 0xb9e0, -v49
	v_fmac_f16_e32 v10, 0x370e, v52
	s_delay_alu instid0(VALU_DEP_4) | instskip(NEXT) | instid1(VALU_DEP_4)
	v_add_f16_e32 v33, v11, v19
	v_add_f16_e32 v23, v23, v50
	s_delay_alu instid0(VALU_DEP_4) | instskip(SKIP_2) | instid1(VALU_DEP_4)
	v_add_f16_e32 v18, v18, v50
	v_sub_f16_e32 v11, v19, v11
	v_mul_f16_e64 v19, v20, v179
	v_add_f16_e32 v39, v21, v23
	s_delay_alu instid0(VALU_DEP_4) | instskip(SKIP_3) | instid1(VALU_DEP_4)
	v_sub_f16_e32 v37, v18, v10
	v_sub_f16_e32 v21, v23, v21
	v_add_f16_e32 v10, v10, v18
	v_lshrrev_b32_e32 v23, 16, v9
	v_pack_b32_f16 v33, v33, v37
	v_sub_f16_e32 v37, v17, v22
	v_add_f16_e32 v17, v22, v17
	v_pack_b32_f16 v10, v11, v10
	v_mul_f16_e64 v22, v38, v180
	s_delay_alu instid0(VALU_DEP_4) | instskip(NEXT) | instid1(VALU_DEP_4)
	v_pack_b32_f16 v37, v37, v39
	v_pack_b32_f16 v17, v17, v21
	v_add_f16_e32 v39, v57, v60
	ds_store_2addr_b32 v156, v33, v37 offset0:48 offset1:72
	ds_store_2addr_b32 v156, v17, v10 offset0:96 offset1:120
	v_and_b32_e32 v10, 0xffff, v16
	v_lshrrev_b32_e32 v17, 16, v20
	v_mul_f16_e64 v16, v34, v181
	v_mul_f16_e64 v33, v23, v176
	s_delay_alu instid0(VALU_DEP_4) | instskip(NEXT) | instid1(VALU_DEP_4)
	v_mul_u32_u24_e32 v10, 0xa8, v10
	v_mul_f16_e64 v18, v17, v179
	v_fmac_f16_e32 v19, v17, v5
	s_delay_alu instid0(VALU_DEP_4)
	v_fma_f16 v33, v9, v7, -v33
	v_mul_f16_e64 v9, v9, v176
	v_add_lshl_u32 v161, v10, v172, 2
	v_lshrrev_b32_e32 v10, 16, v34
	v_fma_f16 v18, v20, v5, -v18
	v_lshrrev_b32_e32 v20, 16, v38
	v_fmac_f16_e32 v9, v23, v7
	s_delay_alu instid0(VALU_DEP_4) | instskip(SKIP_1) | instid1(VALU_DEP_4)
	v_mul_f16_e64 v11, v10, v181
	v_fmac_f16_e32 v16, v10, v4
	v_mul_f16_e64 v21, v20, v180
	v_lshrrev_b32_e32 v10, 16, v174
	v_fmac_f16_e32 v22, v20, v6
	v_fma_f16 v11, v34, v4, -v11
	v_lshrrev_b32_e32 v34, 16, v40
	v_fma_f16 v21, v38, v6, -v21
	v_mul_f16_e64 v38, v40, v177
	v_mul_f16_e64 v17, v10, v178
	;; [unrolled: 1-line block ×4, first 2 shown]
	s_delay_alu instid0(VALU_DEP_4) | instskip(NEXT) | instid1(VALU_DEP_4)
	v_fmac_f16_e32 v38, v34, v31
	v_fma_f16 v17, v174, v32, -v17
	s_delay_alu instid0(VALU_DEP_4) | instskip(NEXT) | instid1(VALU_DEP_4)
	v_fmac_f16_e32 v20, v10, v32
	v_fma_f16 v37, v40, v31, -v37
	v_add_f16_e32 v34, v21, v33
	v_add_f16_e32 v23, v19, v38
	v_add_f16_e32 v10, v11, v17
	v_sub_f16_e32 v11, v11, v17
	v_add_f16_e32 v17, v16, v20
	v_sub_f16_e32 v16, v16, v20
	v_add_f16_e32 v20, v18, v37
	;; [unrolled: 2-line block ×4, first 2 shown]
	v_add_f16_e32 v22, v20, v10
	v_sub_f16_e32 v18, v18, v37
	v_lshrrev_b32_e32 v37, 16, v8
	v_sub_f16_e32 v19, v19, v38
	v_add_f16_e32 v40, v33, v40
	v_add_f16_e32 v22, v34, v22
	v_sub_f16_e32 v38, v59, v58
	v_sub_f16_e32 v42, v21, v18
	;; [unrolled: 1-line block ×3, first 2 shown]
	v_add_f16_e32 v37, v37, v40
	v_add_f16_e32 v8, v8, v22
	;; [unrolled: 1-line block ×3, first 2 shown]
	v_sub_f16_e32 v21, v11, v21
	v_add_f16_e32 v43, v9, v19
	v_fmamk_f16 v40, v40, 0xbcab, v37
	v_fmamk_f16 v22, v22, 0xbcab, v8
	v_pack_b32_f16 v8, v8, v37
	v_pack_b32_f16 v37, v38, v39
	v_sub_f16_e32 v38, v10, v34
	v_sub_f16_e32 v39, v17, v33
	;; [unrolled: 1-line block ×5, first 2 shown]
	v_mul_f16_e32 v42, 0xb846, v42
	v_mul_f16_e32 v38, 0x3a52, v38
	;; [unrolled: 1-line block ×4, first 2 shown]
	v_add_f16_e32 v41, v41, v11
	v_add_f16_e32 v43, v43, v16
	v_fmamk_f16 v48, v21, 0x3574, v42
	v_fmamk_f16 v50, v34, 0x2b26, v38
	;; [unrolled: 1-line block ×4, first 2 shown]
	v_sub_f16_e32 v16, v19, v16
	v_fmac_f16_e32 v48, 0x370e, v41
	v_add_f16_e32 v50, v50, v22
	v_fmac_f16_e32 v49, 0x370e, v43
	v_add_f16_e32 v52, v52, v40
	v_sub_f16_e32 v11, v18, v11
	v_fma_f16 v19, v16, 0x3b00, -v44
	v_mul_f16_e32 v16, 0x3b00, v16
	v_add_f16_e32 v54, v49, v50
	v_sub_f16_e32 v55, v52, v48
	v_fma_f16 v18, v11, 0x3b00, -v42
	v_mul_f16_e32 v11, 0x3b00, v11
	v_fma_f16 v9, v9, 0xb574, -v16
	v_mul_f16_e32 v16, 0x2b26, v33
	v_pack_b32_f16 v54, v54, v55
	ds_store_b32 v156, v37 offset:576
	ds_store_2addr_b32 v161, v8, v54 offset1:24
	v_sub_f16_e32 v8, v20, v10
	v_sub_f16_e32 v10, v23, v17
	v_mul_f16_e32 v17, 0x2b26, v34
	v_fma_f16 v11, v21, 0xb574, -v11
	v_fmac_f16_e32 v9, 0x370e, v43
	v_fmac_f16_e32 v18, 0x370e, v41
	v_fma_f16 v16, v10, 0x39e0, -v16
	v_fma_f16 v17, v8, 0x39e0, -v17
	;; [unrolled: 1-line block ×4, first 2 shown]
	v_fmac_f16_e32 v11, 0x370e, v41
	v_fmac_f16_e32 v19, 0x370e, v43
	v_add_f16_e32 v17, v17, v22
	v_add_f16_e32 v8, v8, v22
	;; [unrolled: 1-line block ×4, first 2 shown]
	s_delay_alu instid0(VALU_DEP_3) | instskip(NEXT) | instid1(VALU_DEP_3)
	v_add_f16_e32 v20, v9, v8
	v_sub_f16_e32 v21, v10, v11
	s_delay_alu instid0(VALU_DEP_3)
	v_add_f16_e32 v22, v18, v16
	v_sub_f16_e32 v16, v16, v18
	v_sub_f16_e32 v8, v8, v9
	v_add_f16_e32 v9, v11, v10
	v_pack_b32_f16 v20, v20, v21
	v_sub_f16_e32 v21, v17, v19
	v_add_f16_e32 v17, v19, v17
	s_delay_alu instid0(VALU_DEP_4) | instskip(SKIP_1) | instid1(VALU_DEP_4)
	v_pack_b32_f16 v8, v8, v9
	v_add_f16_e32 v9, v48, v52
	v_pack_b32_f16 v21, v21, v22
	s_delay_alu instid0(VALU_DEP_4)
	v_pack_b32_f16 v10, v17, v16
	ds_store_2addr_b32 v161, v20, v21 offset0:48 offset1:72
	ds_store_2addr_b32 v161, v10, v8 offset0:96 offset1:120
	v_sub_f16_e32 v8, v50, v49
	v_mad_co_u64_u32 v[20:21], null, v94, 24, s[0:1]
	s_add_nc_u64 s[0:1], s[12:13], 0x1260
	s_delay_alu instid0(VALU_DEP_2)
	v_pack_b32_f16 v8, v8, v9
	ds_store_b32 v161, v8 offset:576
	global_wb scope:SCOPE_SE
	s_wait_dscnt 0x0
	s_barrier_signal -1
	s_barrier_wait -1
	global_inv scope:SCOPE_SE
	ds_load_2addr_b32 v[22:23], v53 offset0:80 offset1:136
	s_clause 0x1
	global_load_b64 v[33:34], v[20:21], off offset:680
	global_load_b128 v[8:11], v[20:21], off offset:664
	s_wait_dscnt 0x0
	v_lshrrev_b32_e32 v39, 16, v22
	v_lshrrev_b32_e32 v41, 16, v23
	s_wait_loadcnt 0x1
	v_lshrrev_b32_e32 v172, 16, v34
	s_wait_loadcnt 0x0
	v_lshrrev_b32_e32 v162, 16, v9
	v_lshrrev_b32_e32 v170, 16, v11
	;; [unrolled: 1-line block ×5, first 2 shown]
	v_mul_f16_e64 v16, v39, v162
	v_mul_f16_e64 v44, v22, v162
	s_delay_alu instid0(VALU_DEP_2)
	v_fma_f16 v40, v22, v9, -v16
	s_clause 0x1
	global_load_b64 v[37:38], v[20:21], off offset:2024
	global_load_b128 v[16:19], v[20:21], off offset:2008
	v_fmac_f16_e32 v44, v39, v9
	s_wait_loadcnt 0x1
	v_lshrrev_b32_e32 v167, 16, v38
	s_wait_loadcnt 0x0
	v_lshrrev_b32_e32 v164, 16, v17
	v_lshrrev_b32_e32 v166, 16, v19
	s_delay_alu instid0(VALU_DEP_2) | instskip(SKIP_1) | instid1(VALU_DEP_2)
	v_mul_f16_e64 v42, v41, v164
	v_mul_f16_e64 v49, v23, v164
	v_fma_f16 v48, v23, v17, -v42
	ds_load_2addr_b32 v[22:23], v45 offset0:160 offset1:216
	v_fmac_f16_e32 v49, v41, v17
	s_wait_dscnt 0x0
	v_lshrrev_b32_e32 v42, 16, v22
	v_mul_f16_e64 v57, v22, v170
	v_mul_f16_e64 v52, v23, v166
	s_delay_alu instid0(VALU_DEP_3) | instskip(NEXT) | instid1(VALU_DEP_3)
	v_mul_f16_e64 v43, v42, v170
	v_fmac_f16_e32 v57, v42, v11
	ds_load_2addr_b32 v[41:42], v61 offset0:112 offset1:168
	v_fma_f16 v56, v22, v11, -v43
	v_lshrrev_b32_e32 v43, 16, v23
	s_delay_alu instid0(VALU_DEP_1) | instskip(SKIP_1) | instid1(VALU_DEP_2)
	v_mul_f16_e64 v50, v43, v166
	v_fmac_f16_e32 v52, v43, v19
	v_fma_f16 v50, v23, v19, -v50
	ds_load_2addr_b32 v[22:23], v47 offset0:112 offset1:168
	s_wait_dscnt 0x1
	v_mul_f16_e64 v39, v42, v174
	s_wait_dscnt 0x0
	v_lshrrev_b32_e32 v58, 16, v22
	v_lshrrev_b32_e32 v60, 16, v23
	v_mul_f16_e64 v55, v23, v167
	s_delay_alu instid0(VALU_DEP_3) | instskip(NEXT) | instid1(VALU_DEP_2)
	v_mul_f16_e64 v54, v58, v172
	v_fmac_f16_e32 v55, v60, v38
	s_delay_alu instid0(VALU_DEP_2) | instskip(SKIP_2) | instid1(VALU_DEP_2)
	v_fma_f16 v59, v22, v34, -v54
	v_mul_f16_e64 v54, v60, v167
	v_mul_f16_e64 v22, v22, v172
	v_fma_f16 v54, v23, v38, -v54
	v_lshrrev_b32_e32 v23, 16, v42
	s_delay_alu instid0(VALU_DEP_3) | instskip(NEXT) | instid1(VALU_DEP_2)
	v_fmac_f16_e32 v22, v58, v34
	v_fmac_f16_e32 v39, v23, v8
	v_mul_f16_e64 v23, v23, v174
	s_delay_alu instid0(VALU_DEP_1)
	v_fma_f16 v23, v42, v8, -v23
	ds_load_2addr_b32 v[42:43], v51 offset0:16 offset1:72
	v_add_f16_e32 v58, v23, v59
	v_sub_f16_e32 v23, v23, v59
	v_add_f16_e32 v59, v39, v22
	v_sub_f16_e32 v22, v39, v22
	s_wait_dscnt 0x0
	v_lshrrev_b32_e32 v39, 16, v43
	v_mul_f16_e64 v60, v43, v175
	v_lshrrev_b32_e32 v211, 16, v42
	s_delay_alu instid0(VALU_DEP_2) | instskip(SKIP_1) | instid1(VALU_DEP_1)
	v_fmac_f16_e32 v60, v39, v33
	v_mul_f16_e64 v39, v39, v175
	v_fma_f16 v39, v43, v33, -v39
	s_delay_alu instid0(VALU_DEP_1)
	v_add_f16_e64 v183, v40, v39
	v_sub_f16_e32 v39, v40, v39
	v_add_f16_e32 v40, v44, v60
	v_sub_f16_e32 v60, v44, v60
	ds_load_2addr_b32 v[43:44], v53 offset0:192 offset1:248
	v_sub_f16_e64 v186, v183, v58
	s_wait_dscnt 0x0
	v_lshrrev_b32_e32 v184, 16, v44
	v_mul_f16_e64 v185, v44, v182
	s_delay_alu instid0(VALU_DEP_1) | instskip(SKIP_1) | instid1(VALU_DEP_1)
	v_fmac_f16_e64 v185, v184, v10
	v_mul_f16_e64 v184, v184, v182
	v_fma_f16 v44, v44, v10, -v184
	s_delay_alu instid0(VALU_DEP_1)
	v_add_f16_e64 v184, v44, v56
	v_sub_f16_e32 v44, v56, v44
	v_add_f16_e64 v56, v185, v57
	v_sub_f16_e64 v57, v57, v185
	v_add_f16_e64 v185, v183, v58
	v_sub_f16_e64 v58, v58, v184
	v_sub_f16_e64 v183, v184, v183
	s_delay_alu instid0(VALU_DEP_3) | instskip(SKIP_4) | instid1(VALU_DEP_4)
	v_add_f16_e64 v188, v184, v185
	v_add_f16_e64 v184, v40, v59
	v_sub_f16_e64 v185, v40, v59
	v_sub_f16_e32 v59, v59, v56
	v_sub_f16_e32 v40, v56, v40
	v_add_f16_e64 v189, v56, v184
	v_add_f16_e32 v56, v44, v39
	v_sub_f16_e64 v184, v44, v39
	v_sub_f16_e32 v44, v23, v44
	v_sub_f16_e32 v39, v39, v23
	s_delay_alu instid0(VALU_DEP_4) | instskip(SKIP_4) | instid1(VALU_DEP_4)
	v_add_f16_e64 v190, v56, v23
	v_add_f16_e32 v23, v57, v60
	v_sub_f16_e32 v56, v57, v60
	v_sub_f16_e32 v57, v22, v57
	;; [unrolled: 1-line block ×3, first 2 shown]
	v_add_f16_e64 v191, v23, v22
	v_mul_f16_e32 v22, 0x3a52, v58
	v_mul_f16_e64 v23, 0x2b26, v183
	s_delay_alu instid0(VALU_DEP_2) | instskip(NEXT) | instid1(VALU_DEP_2)
	v_fma_f16 v192, 0x2b26, v183, v22
	v_fma_f16 v193, v186, 0x39e0, -v23
	v_fma_f16 v194, v186, 0xb9e0, -v22
	v_mul_f16_e32 v22, 0x3a52, v59
	v_mul_f16_e32 v23, 0x2b26, v40
	ds_load_2addr_b32 v[58:59], v51 offset0:128 offset1:184
	ds_load_2addr_b32 v[186:187], v45 offset0:48 offset1:104
	v_lshrrev_b32_e32 v183, 16, v37
	v_fmamk_f16 v40, v40, 0x2b26, v22
	v_fma_f16 v195, v185, 0x39e0, -v23
	v_fma_f16 v196, v185, 0xb9e0, -v22
	v_mul_f16_e64 v22, 0xb846, v184
	v_mul_f16_e32 v23, 0x3b00, v39
	v_lshrrev_b32_e32 v185, 16, v16
	v_lshrrev_b32_e32 v184, 16, v18
	s_delay_alu instid0(VALU_DEP_4)
	v_fma_f16 v39, v39, 0x3b00, -v22
	v_fma_f16 v197, 0x3574, v44, v22
	v_fma_f16 v44, v44, 0xb574, -v23
	v_mul_f16_e32 v22, 0xb846, v56
	v_mul_f16_e32 v23, 0x3b00, v60
	v_fmac_f16_e64 v39, 0x370e, v190
	v_fmac_f16_e64 v197, 0x370e, v190
	;; [unrolled: 1-line block ×3, first 2 shown]
	v_fma_f16 v198, 0x3574, v57, v22
	v_fma_f16 v199, v57, 0xb574, -v23
	ds_load_2addr_b32 v[56:57], v46 offset0:96 offset1:152
	v_fma_f16 v60, v60, 0x3b00, -v22
	s_wait_dscnt 0x2
	v_lshrrev_b32_e32 v23, 16, v58
	v_mul_f16_e64 v201, v58, v183
	s_wait_dscnt 0x1
	v_lshrrev_b32_e32 v202, 16, v186
	v_mul_f16_e64 v203, v186, v184
	v_fmac_f16_e64 v198, 0x370e, v191
	v_fmac_f16_e64 v60, 0x370e, v191
	;; [unrolled: 1-line block ×3, first 2 shown]
	v_mul_f16_e64 v23, v23, v183
	v_fmac_f16_e64 v203, v202, v18
	v_mul_f16_e64 v202, v202, v184
	v_fmac_f16_e64 v199, 0x370e, v191
	v_lshrrev_b32_e32 v213, 16, v59
	v_fma_f16 v58, v58, v37, -v23
	s_delay_alu instid0(VALU_DEP_4) | instskip(NEXT) | instid1(VALU_DEP_2)
	v_fma_f16 v202, v186, v18, -v202
	v_add_f16_e64 v205, v48, v58
	s_wait_dscnt 0x0
	v_lshrrev_b32_e32 v22, 16, v56
	v_mul_f16_e64 v200, v56, v185
	v_add_f16_e64 v206, v202, v50
	v_sub_f16_e32 v48, v48, v58
	v_sub_f16_e64 v50, v50, v202
	s_delay_alu instid0(VALU_DEP_4) | instskip(SKIP_1) | instid1(VALU_DEP_1)
	v_fmac_f16_e64 v200, v22, v16
	v_mul_f16_e64 v22, v22, v185
	v_fma_f16 v56, v56, v16, -v22
	s_delay_alu instid0(VALU_DEP_1) | instskip(SKIP_1) | instid1(VALU_DEP_2)
	v_add_f16_e64 v204, v56, v54
	v_sub_f16_e32 v54, v56, v54
	v_add_f16_e64 v22, v205, v204
	v_sub_f16_e64 v202, v204, v206
	s_delay_alu instid0(VALU_DEP_2)
	v_add_f16_e64 v207, v206, v22
	ds_load_2addr_b32 v[22:23], v61 offset1:56
	s_wait_dscnt 0x0
	v_lshrrev_b32_e32 v186, 16, v22
	v_lshrrev_b32_e32 v208, 16, v23
	v_add_f16_e64 v22, v22, v188
	v_add_f16_e64 v209, v23, v207
	s_delay_alu instid0(VALU_DEP_4) | instskip(NEXT) | instid1(VALU_DEP_3)
	v_add_f16_e64 v23, v186, v189
	v_fma_f16 v186, 0xbcab, v188, v22
	s_delay_alu instid0(VALU_DEP_3) | instskip(NEXT) | instid1(VALU_DEP_3)
	v_fma_f16 v207, 0xbcab, v207, v209
	v_fma_f16 v188, 0xbcab, v189, v23
	v_pack_b32_f16 v22, v22, v23
	s_delay_alu instid0(VALU_DEP_4)
	v_add_f16_e64 v23, v192, v186
	v_add_f16_e64 v189, v193, v186
	;; [unrolled: 1-line block ×6, first 2 shown]
	v_sub_f16_e64 v191, v189, v60
	v_add_f16_e64 v60, v60, v189
	v_add_f16_e64 v189, v39, v190
	v_sub_f16_e64 v193, v40, v197
	v_sub_f16_e64 v192, v188, v44
	v_add_f16_e64 v44, v44, v188
	v_add_f16_e64 v188, v198, v23
	v_sub_f16_e64 v39, v190, v39
	v_add_f16_e64 v190, v199, v186
	v_sub_f16_e64 v186, v186, v199
	v_sub_f16_e64 v23, v23, v198
	v_add_f16_e64 v40, v197, v40
	v_pack_b32_f16 v188, v188, v193
	v_pack_b32_f16 v190, v190, v192
	;; [unrolled: 1-line block ×6, first 2 shown]
	ds_store_b32 v61, v188 offset:672
	ds_store_b32 v61, v190 offset:1344
	;; [unrolled: 1-line block ×6, first 2 shown]
	v_add_f16_e64 v44, v200, v55
	v_add_f16_e64 v60, v49, v201
	;; [unrolled: 1-line block ×3, first 2 shown]
	ds_load_b32 v195, v61 offset:4480
	v_lshrrev_b32_e32 v190, 16, v57
	v_lshrrev_b32_e32 v197, 16, v43
	v_add_f16_e32 v23, v60, v44
	v_lshrrev_b32_e32 v199, 16, v187
	v_sub_f16_e64 v49, v49, v201
	v_sub_f16_e64 v52, v52, v203
	;; [unrolled: 1-line block ×3, first 2 shown]
	v_add_f16_e64 v193, v192, v23
	v_sub_f16_e64 v204, v60, v44
	v_sub_f16_e64 v44, v44, v192
	;; [unrolled: 1-line block ×3, first 2 shown]
	v_add_f16_e64 v192, v50, v48
	v_add_f16_e64 v194, v208, v193
	v_sub_f16_e64 v55, v200, v55
	v_sub_f16_e64 v203, v206, v205
	;; [unrolled: 1-line block ×3, first 2 shown]
	v_sub_f16_e32 v50, v54, v50
	v_pack_b32_f16 v23, v209, v194
	v_sub_f16_e32 v48, v48, v54
	v_add_f16_e64 v54, v192, v54
	v_add_f16_e64 v192, v52, v49
	v_sub_f16_e64 v206, v52, v49
	ds_store_2addr_b32 v61, v22, v23 offset1:56
	s_clause 0x1
	global_load_b64 v[39:40], v[20:21], off offset:3368
	global_load_b128 v[20:23], v[20:21], off offset:3352
	v_sub_f16_e32 v52, v55, v52
	v_sub_f16_e32 v49, v49, v55
	v_add_f16_e64 v55, v192, v55
	v_mul_f16_e64 v192, 0x3a52, v202
	v_mul_f16_e64 v202, 0x2b26, v203
	v_mul_f16_e32 v44, 0x3a52, v44
	v_fma_f16 v193, 0xbcab, v193, v194
	s_delay_alu instid0(VALU_DEP_4) | instskip(NEXT) | instid1(VALU_DEP_4)
	v_fma_f16 v203, 0x2b26, v203, v192
	v_fma_f16 v202, v201, 0x39e0, -v202
	v_fma_f16 v192, v201, 0xb9e0, -v192
	v_mul_f16_e64 v201, 0x2b26, v60
	v_fmamk_f16 v60, v60, 0x2b26, v44
	v_fma_f16 v44, v204, 0xb9e0, -v44
	v_add_f16_e64 v202, v202, v207
	v_add_f16_e64 v192, v192, v207
	v_fma_f16 v201, v204, 0x39e0, -v201
	v_mul_f16_e64 v204, 0xb846, v205
	v_mul_f16_e64 v205, 0x3b00, v48
	v_add_f16_e64 v60, v60, v193
	v_add_f16_e64 v44, v44, v193
	;; [unrolled: 1-line block ×3, first 2 shown]
	v_fma_f16 v48, v48, 0x3b00, -v204
	v_fma_f16 v204, 0x3574, v50, v204
	v_fma_f16 v50, v50, 0xb574, -v205
	v_mul_f16_e64 v205, 0xb846, v206
	v_mul_f16_e64 v206, 0x3b00, v49
	v_fmac_f16_e32 v48, 0x370e, v54
	v_fmac_f16_e64 v204, 0x370e, v54
	v_fmac_f16_e32 v50, 0x370e, v54
	v_fma_f16 v49, v49, 0x3b00, -v205
	v_fma_f16 v205, 0x3574, v52, v205
	v_fma_f16 v52, v52, 0xb574, -v206
	s_delay_alu instid0(VALU_DEP_3) | instskip(NEXT) | instid1(VALU_DEP_3)
	v_fmac_f16_e32 v49, 0x370e, v55
	v_fmac_f16_e64 v205, 0x370e, v55
	s_delay_alu instid0(VALU_DEP_3) | instskip(NEXT) | instid1(VALU_DEP_3)
	v_fmac_f16_e32 v52, 0x370e, v55
	v_sub_f16_e64 v193, v202, v49
	v_add_f16_e64 v49, v49, v202
	v_add_f16_e64 v202, v48, v201
	v_sub_f16_e64 v48, v201, v48
	v_add_f16_e64 v201, v52, v192
	v_sub_f16_e64 v52, v192, v52
	v_sub_f16_e64 v192, v44, v50
	v_add_f16_e32 v44, v50, v44
	v_pack_b32_f16 v48, v49, v48
	v_pack_b32_f16 v193, v193, v202
	s_delay_alu instid0(VALU_DEP_4) | instskip(NEXT) | instid1(VALU_DEP_4)
	v_pack_b32_f16 v192, v201, v192
	v_pack_b32_f16 v44, v52, v44
	s_wait_loadcnt 0x0
	v_lshrrev_b32_e32 v191, 16, v20
	v_lshrrev_b32_e32 v188, 16, v21
	;; [unrolled: 1-line block ×3, first 2 shown]
	s_delay_alu instid0(VALU_DEP_3) | instskip(NEXT) | instid1(VALU_DEP_2)
	v_mul_f16_e64 v186, v190, v191
	v_mul_f16_e64 v210, v187, v189
	s_delay_alu instid0(VALU_DEP_2) | instskip(SKIP_2) | instid1(VALU_DEP_4)
	v_fma_f16 v196, v57, v20, -v186
	v_mul_f16_e64 v186, v197, v188
	v_mul_f16_e64 v57, v57, v191
	v_fmac_f16_e64 v210, v199, v22
	s_delay_alu instid0(VALU_DEP_3) | instskip(SKIP_4) | instid1(VALU_DEP_4)
	v_fma_f16 v198, v43, v21, -v186
	v_mul_f16_e64 v186, v199, v189
	v_mul_f16_e64 v43, v43, v188
	v_fmac_f16_e64 v57, v190, v20
	v_lshrrev_b32_e32 v190, 16, v40
	v_fma_f16 v208, v187, v22, -v186
	v_lshrrev_b32_e32 v186, 16, v23
	v_fmac_f16_e64 v43, v197, v21
	s_wait_dscnt 0x1
	v_lshrrev_b32_e32 v197, 16, v195
	s_delay_alu instid0(VALU_DEP_3) | instskip(NEXT) | instid1(VALU_DEP_2)
	v_mul_f16_e64 v187, v211, v186
	v_mul_f16_e64 v199, v197, v190
	s_delay_alu instid0(VALU_DEP_2) | instskip(SKIP_1) | instid1(VALU_DEP_3)
	v_fma_f16 v212, v42, v23, -v187
	v_lshrrev_b32_e32 v187, 16, v39
	v_fma_f16 v199, v195, v40, -v199
	v_mul_f16_e64 v195, v195, v190
	v_mul_f16_e64 v42, v42, v186
	s_delay_alu instid0(VALU_DEP_4) | instskip(NEXT) | instid1(VALU_DEP_4)
	v_mul_f16_e64 v214, v213, v187
	v_add_f16_e64 v56, v196, v199
	s_delay_alu instid0(VALU_DEP_4) | instskip(NEXT) | instid1(VALU_DEP_4)
	v_fmac_f16_e64 v195, v197, v40
	v_fmac_f16_e64 v42, v211, v23
	v_sub_f16_e64 v58, v196, v199
	v_fma_f16 v214, v59, v39, -v214
	v_mul_f16_e64 v59, v59, v187
	v_add_f16_e64 v196, v57, v195
	v_sub_f16_e64 v57, v57, v195
	v_add_f16_e64 v200, v210, v42
	v_add_f16_e64 v195, v198, v214
	v_fmac_f16_e64 v59, v213, v39
	v_sub_f16_e64 v197, v198, v214
	v_sub_f16_e64 v199, v212, v208
	;; [unrolled: 1-line block ×3, first 2 shown]
	v_add_f16_e64 v206, v195, v56
	v_add_f16_e64 v198, v43, v59
	v_sub_f16_e32 v43, v43, v59
	v_add_f16_e64 v59, v208, v212
	v_lshrrev_b32_e32 v208, 16, v41
	v_sub_f16_e64 v201, v199, v197
	v_add_f16_e64 v54, v198, v196
	v_add_f16_e64 v202, v42, v43
	v_add_f16_e64 v206, v59, v206
	v_sub_f16_e32 v52, v56, v59
	v_mul_f16_e64 v201, 0xb846, v201
	v_add_f16_e64 v54, v200, v54
	v_add_f16_e64 v202, v202, v57
	;; [unrolled: 1-line block ×3, first 2 shown]
	v_mul_f16_e32 v52, 0x3a52, v52
	s_delay_alu instid0(VALU_DEP_4) | instskip(NEXT) | instid1(VALU_DEP_3)
	v_add_f16_e64 v55, v208, v54
	v_fma_f16 v194, 0xbcab, v206, v41
	s_delay_alu instid0(VALU_DEP_2) | instskip(SKIP_4) | instid1(VALU_DEP_3)
	v_fmamk_f16 v54, v54, 0xbcab, v55
	v_pack_b32_f16 v41, v41, v55
	v_add_f16_e64 v55, v203, v207
	v_sub_f16_e64 v203, v60, v204
	v_add_f16_e64 v60, v204, v60
	v_add_f16_e64 v50, v205, v55
	v_sub_f16_e64 v55, v55, v205
	s_delay_alu instid0(VALU_DEP_2) | instskip(NEXT) | instid1(VALU_DEP_2)
	v_pack_b32_f16 v50, v50, v203
	v_pack_b32_f16 v49, v55, v60
	v_sub_f16_e64 v55, v59, v195
	v_sub_f16_e64 v59, v196, v200
	;; [unrolled: 1-line block ×4, first 2 shown]
	v_add_f16_e64 v200, v199, v197
	v_sub_f16_e64 v199, v58, v199
	v_sub_f16_e32 v42, v57, v42
	v_mul_f16_e32 v59, 0x3a52, v59
	v_mul_f16_e64 v203, 0xb846, v203
	v_add_f16_e64 v200, v200, v58
	v_fma_f16 v204, 0x3574, v199, v201
	v_fma_f16 v206, 0x2b26, v55, v52
	;; [unrolled: 1-line block ×4, first 2 shown]
	v_sub_f16_e32 v43, v43, v57
	v_fmac_f16_e64 v204, 0x370e, v200
	v_add_f16_e64 v206, v206, v194
	v_add_f16_e64 v207, v207, v54
	v_fmac_f16_e64 v205, 0x370e, v202
	s_delay_alu instid0(VALU_DEP_2) | instskip(NEXT) | instid1(VALU_DEP_2)
	v_sub_f16_e64 v209, v207, v204
	v_add_f16_e64 v208, v205, v206
	s_delay_alu instid0(VALU_DEP_1)
	v_pack_b32_f16 v208, v208, v209
	ds_store_b32 v61, v48 offset:2912
	ds_store_b32 v61, v44 offset:3584
	;; [unrolled: 1-line block ×6, first 2 shown]
	ds_store_2addr_b32 v46, v50, v208 offset0:96 offset1:152
	v_sub_f16_e64 v41, v195, v56
	v_mul_f16_e32 v49, 0x2b26, v55
	v_sub_f16_e64 v48, v197, v58
	v_sub_f16_e64 v44, v198, v196
	;; [unrolled: 1-line block ×3, first 2 shown]
	v_add_f16_e64 v193, v204, v207
	v_fma_f16 v49, v41, 0x39e0, -v49
	v_fma_f16 v41, v41, 0xb9e0, -v52
	;; [unrolled: 1-line block ×3, first 2 shown]
	v_mul_f16_e32 v43, 0x3b00, v43
	v_fma_f16 v50, v48, 0x3b00, -v201
	v_mul_f16_e32 v48, 0x3b00, v48
	v_add_f16_e64 v49, v49, v194
	v_fmac_f16_e64 v52, 0x370e, v202
	v_fma_f16 v42, v42, 0xb574, -v43
	v_mul_f16_e32 v43, 0x2b26, v60
	v_fma_f16 v48, v199, 0xb574, -v48
	v_fmac_f16_e64 v50, 0x370e, v200
	v_add_f16_e64 v41, v41, v194
	v_fmac_f16_e64 v42, 0x370e, v202
	v_fma_f16 v43, v44, 0x39e0, -v43
	v_fma_f16 v44, v44, 0xb9e0, -v59
	v_fmac_f16_e64 v48, 0x370e, v200
	s_delay_alu instid0(VALU_DEP_3) | instskip(NEXT) | instid1(VALU_DEP_3)
	v_add_f16_e32 v43, v43, v54
	v_add_f16_e32 v44, v44, v54
	v_sub_f16_e32 v54, v49, v52
	v_add_f16_e32 v49, v52, v49
	s_delay_alu instid0(VALU_DEP_4)
	v_add_f16_e32 v52, v50, v43
	v_sub_f16_e32 v43, v43, v50
	v_add_f16_e32 v50, v42, v41
	v_sub_f16_e32 v41, v41, v42
	v_sub_f16_e32 v42, v44, v48
	v_add_f16_e32 v44, v48, v44
	v_pack_b32_f16 v48, v54, v52
	v_pack_b32_f16 v43, v49, v43
	s_delay_alu instid0(VALU_DEP_4) | instskip(NEXT) | instid1(VALU_DEP_4)
	v_pack_b32_f16 v42, v50, v42
	v_pack_b32_f16 v41, v41, v44
	ds_store_b32 v61, v42 offset:1792
	ds_store_b32 v61, v48 offset:2464
	;; [unrolled: 1-line block ×3, first 2 shown]
	v_pack_b32_f16 v42, v192, v193
	ds_store_b32 v61, v41 offset:3808
	ds_store_b32 v61, v42 offset:4480
	global_wb scope:SCOPE_SE
	s_wait_dscnt 0x0
	s_barrier_signal -1
	s_barrier_wait -1
	global_inv scope:SCOPE_SE
	global_load_b32 v48, v[24:25], off offset:4704
	v_lshlrev_b32_e32 v41, 2, v94
	s_clause 0x6
	global_load_b32 v42, v41, s[0:1] offset:224
	global_load_b32 v52, v41, s[0:1] offset:448
	global_load_b32 v60, v41, s[0:1] offset:672
	global_load_b32 v196, v41, s[0:1] offset:896
	global_load_b32 v197, v41, s[0:1] offset:1120
	global_load_b32 v198, v41, s[0:1] offset:1344
	global_load_b32 v199, v41, s[0:1] offset:1568
	ds_load_2addr_b32 v[43:44], v61 offset1:56
	s_wait_dscnt 0x0
	v_lshrrev_b32_e32 v50, 16, v43
	s_wait_loadcnt 0x7
	v_lshrrev_b32_e32 v49, 16, v48
	s_delay_alu instid0(VALU_DEP_1) | instskip(NEXT) | instid1(VALU_DEP_3)
	v_mul_f16_e32 v54, v43, v49
	v_mul_f16_e32 v49, v50, v49
	s_delay_alu instid0(VALU_DEP_2) | instskip(NEXT) | instid1(VALU_DEP_2)
	v_fmac_f16_e32 v54, v50, v48
	v_fma_f16 v43, v43, v48, -v49
	s_delay_alu instid0(VALU_DEP_1)
	v_pack_b32_f16 v43, v43, v54
	ds_store_b32 v61, v43
	s_clause 0x2
	global_load_b32 v43, v41, s[0:1] offset:3024
	global_load_b32 v50, v41, s[0:1] offset:3248
	global_load_b32 v200, v41, s[0:1] offset:3472
	ds_load_2addr_b32 v[48:49], v45 offset0:188 offset1:244
	s_wait_dscnt 0x0
	v_lshrrev_b32_e32 v55, 16, v49
	s_wait_loadcnt 0x2
	v_lshrrev_b32_e32 v54, 16, v43
	s_wait_loadcnt 0x1
	v_lshrrev_b32_e32 v58, 16, v50
	s_delay_alu instid0(VALU_DEP_2) | instskip(SKIP_1) | instid1(VALU_DEP_2)
	v_mul_f16_e32 v56, v49, v54
	v_mul_f16_e32 v57, v55, v54
	v_fmac_f16_e32 v56, v55, v43
	ds_load_2addr_b32 v[54:55], v51 offset0:44 offset1:100
	v_fma_f16 v43, v49, v43, -v57
	s_delay_alu instid0(VALU_DEP_1) | instskip(SKIP_3) | instid1(VALU_DEP_2)
	v_pack_b32_f16 v43, v43, v56
	s_wait_dscnt 0x0
	v_lshrrev_b32_e32 v59, 16, v54
	v_mul_f16_e64 v194, v54, v58
	v_mul_f16_e32 v58, v59, v58
	s_delay_alu instid0(VALU_DEP_2) | instskip(NEXT) | instid1(VALU_DEP_2)
	v_fmac_f16_e64 v194, v59, v50
	v_fma_f16 v49, v54, v50, -v58
	v_add_nc_u32_e32 v50, 0xa00, v61
	s_delay_alu instid0(VALU_DEP_2)
	v_pack_b32_f16 v49, v49, v194
	ds_store_2addr_b32 v50, v43, v49 offset0:116 offset1:172
	s_clause 0x2
	global_load_b32 v43, v41, s[0:1] offset:3920
	global_load_b32 v58, v41, s[0:1] offset:4144
	;; [unrolled: 1-line block ×3, first 2 shown]
	ds_load_2addr_b32 v[49:50], v51 offset0:156 offset1:212
	s_wait_dscnt 0x0
	v_lshrrev_b32_e32 v56, 16, v50
	s_wait_loadcnt 0x2
	v_lshrrev_b32_e32 v54, 16, v43
	s_wait_loadcnt 0x1
	v_lshrrev_b32_e32 v195, 16, v58
	s_delay_alu instid0(VALU_DEP_2) | instskip(SKIP_2) | instid1(VALU_DEP_3)
	v_mul_f16_e32 v59, v50, v54
	v_mul_f16_e64 v194, v56, v54
	v_add_nc_u32_e32 v54, 0x1000, v61
	v_fmac_f16_e32 v59, v56, v43
	s_delay_alu instid0(VALU_DEP_3)
	v_fma_f16 v43, v50, v43, -v194
	ds_load_2addr_b32 v[56:57], v54 offset0:12 offset1:68
	v_pack_b32_f16 v43, v43, v59
	s_wait_dscnt 0x0
	v_lshrrev_b32_e32 v202, 16, v56
	v_mul_f16_e64 v203, v56, v195
	s_delay_alu instid0(VALU_DEP_2) | instskip(NEXT) | instid1(VALU_DEP_2)
	v_mul_f16_e64 v195, v202, v195
	v_fmac_f16_e64 v203, v202, v58
	s_delay_alu instid0(VALU_DEP_2) | instskip(NEXT) | instid1(VALU_DEP_1)
	v_fma_f16 v50, v56, v58, -v195
	v_pack_b32_f16 v50, v50, v203
	ds_store_2addr_b32 v47, v43, v50 offset0:84 offset1:140
	s_clause 0x3
	global_load_b32 v43, v41, s[0:1] offset:2352
	global_load_b32 v47, v41, s[0:1] offset:2576
	;; [unrolled: 1-line block ×4, first 2 shown]
	ds_load_2addr_b32 v[58:59], v45 offset0:76 offset1:132
	s_wait_dscnt 0x0
	v_lshrrev_b32_e32 v195, 16, v58
	s_wait_loadcnt 0x3
	v_lshrrev_b32_e32 v194, 16, v43
	s_wait_loadcnt 0x0
	v_lshrrev_b32_e32 v204, 16, v56
	s_delay_alu instid0(VALU_DEP_2) | instskip(SKIP_1) | instid1(VALU_DEP_2)
	v_mul_f16_e64 v202, v58, v194
	v_mul_f16_e64 v203, v195, v194
	v_fmac_f16_e64 v202, v195, v43
	ds_load_2addr_b32 v[194:195], v53 offset0:192 offset1:248
	v_fma_f16 v43, v58, v43, -v203
	v_add_nc_u32_e32 v58, 0x600, v61
	s_delay_alu instid0(VALU_DEP_2) | instskip(SKIP_3) | instid1(VALU_DEP_2)
	v_pack_b32_f16 v43, v43, v202
	s_wait_dscnt 0x0
	v_lshrrev_b32_e32 v205, 16, v195
	v_mul_f16_e64 v206, v195, v204
	v_mul_f16_e64 v204, v205, v204
	s_delay_alu instid0(VALU_DEP_2) | instskip(NEXT) | instid1(VALU_DEP_2)
	v_fmac_f16_e64 v206, v205, v56
	v_fma_f16 v56, v195, v56, -v204
	s_delay_alu instid0(VALU_DEP_1) | instskip(SKIP_3) | instid1(VALU_DEP_1)
	v_pack_b32_f16 v56, v56, v206
	ds_store_2addr_b32 v58, v56, v43 offset0:120 offset1:204
	v_lshrrev_b32_e32 v43, 16, v44
	v_lshrrev_b32_e32 v56, 16, v42
	v_mul_f16_e32 v58, v43, v56
	v_mul_f16_e32 v56, v44, v56
	s_delay_alu instid0(VALU_DEP_2) | instskip(NEXT) | instid1(VALU_DEP_2)
	v_fma_f16 v44, v44, v42, -v58
	v_fmac_f16_e32 v56, v43, v42
	v_lshrrev_b32_e32 v42, 16, v47
	v_lshrrev_b32_e32 v43, 16, v59
	s_delay_alu instid0(VALU_DEP_3) | instskip(NEXT) | instid1(VALU_DEP_3)
	v_pack_b32_f16 v44, v44, v56
	v_mul_f16_e64 v195, v59, v42
	s_delay_alu instid0(VALU_DEP_3) | instskip(NEXT) | instid1(VALU_DEP_2)
	v_mul_f16_e32 v58, v43, v42
	v_fmac_f16_e64 v195, v43, v47
	ds_load_2addr_b32 v[42:43], v61 offset0:112 offset1:168
	v_fma_f16 v58, v59, v47, -v58
	v_lshrrev_b32_e32 v47, 16, v52
	s_wait_dscnt 0x0
	v_lshrrev_b32_e32 v59, 16, v42
	s_delay_alu instid0(VALU_DEP_2) | instskip(NEXT) | instid1(VALU_DEP_2)
	v_mul_f16_e64 v202, v42, v47
	v_mul_f16_e32 v47, v59, v47
	s_delay_alu instid0(VALU_DEP_2) | instskip(NEXT) | instid1(VALU_DEP_2)
	v_fmac_f16_e64 v202, v59, v52
	v_fma_f16 v47, v42, v52, -v47
	v_lshrrev_b32_e32 v42, 16, v60
	v_lshrrev_b32_e32 v52, 16, v43
	s_delay_alu instid0(VALU_DEP_3) | instskip(NEXT) | instid1(VALU_DEP_3)
	v_pack_b32_f16 v47, v47, v202
	v_mul_f16_e64 v203, v43, v42
	s_delay_alu instid0(VALU_DEP_3)
	v_mul_f16_e32 v59, v52, v42
	v_lshrrev_b32_e32 v42, 16, v50
	ds_store_2addr_b32 v61, v44, v47 offset0:56 offset1:112
	v_fmac_f16_e64 v203, v52, v60
	v_fma_f16 v59, v43, v60, -v59
	v_lshrrev_b32_e32 v43, 16, v48
	v_mul_f16_e32 v60, v48, v42
	v_pack_b32_f16 v44, v58, v195
	s_delay_alu instid0(VALU_DEP_3) | instskip(NEXT) | instid1(VALU_DEP_3)
	v_mul_f16_e32 v52, v43, v42
	v_fmac_f16_e32 v60, v43, v50
	ds_load_2addr_b32 v[42:43], v46 offset0:96 offset1:152
	v_fma_f16 v48, v48, v50, -v52
	v_lshrrev_b32_e32 v50, 16, v196
	s_delay_alu instid0(VALU_DEP_2)
	v_pack_b32_f16 v47, v48, v60
	ds_store_2addr_b32 v45, v44, v47 offset0:132 offset1:188
	v_pack_b32_f16 v44, v59, v203
	s_wait_dscnt 0x1
	v_lshrrev_b32_e32 v52, 16, v42
	v_mul_f16_e64 v204, v42, v50
	s_delay_alu instid0(VALU_DEP_2) | instskip(NEXT) | instid1(VALU_DEP_2)
	v_mul_f16_e32 v50, v52, v50
	v_fmac_f16_e64 v204, v52, v196
	v_lshrrev_b32_e32 v52, 16, v43
	s_delay_alu instid0(VALU_DEP_3) | instskip(SKIP_1) | instid1(VALU_DEP_2)
	v_fma_f16 v50, v42, v196, -v50
	v_lshrrev_b32_e32 v42, 16, v197
	v_pack_b32_f16 v47, v50, v204
	s_delay_alu instid0(VALU_DEP_2)
	v_mul_f16_e64 v196, v52, v42
	v_mul_f16_e64 v205, v43, v42
	v_lshrrev_b32_e32 v42, 16, v200
	ds_store_2addr_b32 v61, v44, v47 offset0:168 offset1:224
	v_fma_f16 v196, v43, v197, -v196
	v_lshrrev_b32_e32 v43, 16, v55
	v_fmac_f16_e64 v205, v52, v197
	v_mul_f16_e64 v197, v55, v42
	s_delay_alu instid0(VALU_DEP_3)
	v_mul_f16_e32 v52, v43, v42
	global_load_b32 v42, v41, s[0:1] offset:3696
	v_fmac_f16_e64 v197, v43, v200
	v_pack_b32_f16 v44, v196, v205
	v_fma_f16 v52, v55, v200, -v52
	v_lshrrev_b32_e32 v55, 16, v49
	s_wait_loadcnt 0x0
	v_lshrrev_b32_e32 v43, 16, v42
	s_delay_alu instid0(VALU_DEP_1) | instskip(SKIP_1) | instid1(VALU_DEP_2)
	v_mul_f16_e64 v200, v55, v43
	v_mul_f16_e64 v206, v49, v43
	v_fma_f16 v49, v49, v42, -v200
	s_delay_alu instid0(VALU_DEP_2) | instskip(SKIP_4) | instid1(VALU_DEP_2)
	v_fmac_f16_e64 v206, v55, v42
	ds_load_2addr_b32 v[42:43], v53 offset0:80 offset1:136
	v_lshrrev_b32_e32 v55, 16, v198
	s_wait_dscnt 0x0
	v_lshrrev_b32_e32 v200, 16, v42
	v_mul_f16_e64 v207, v42, v55
	s_delay_alu instid0(VALU_DEP_2) | instskip(NEXT) | instid1(VALU_DEP_2)
	v_mul_f16_e64 v55, v200, v55
	v_fmac_f16_e64 v207, v200, v198
	s_delay_alu instid0(VALU_DEP_2) | instskip(SKIP_2) | instid1(VALU_DEP_3)
	v_fma_f16 v42, v42, v198, -v55
	v_lshrrev_b32_e32 v55, 16, v199
	v_lshrrev_b32_e32 v198, 16, v43
	v_pack_b32_f16 v42, v42, v207
	s_delay_alu instid0(VALU_DEP_2)
	v_mul_f16_e64 v200, v198, v55
	v_mul_f16_e32 v55, v43, v55
	ds_store_2addr_b32 v53, v44, v42 offset0:24 offset1:80
	v_pack_b32_f16 v42, v52, v197
	v_fma_f16 v43, v43, v199, -v200
	v_fmac_f16_e64 v55, v198, v199
	global_load_b32 v198, v41, s[0:1] offset:1792
	v_lshrrev_b32_e32 v200, 16, v194
	v_pack_b32_f16 v44, v49, v206
	ds_store_2addr_b32 v51, v42, v44 offset0:100 offset1:156
	v_pack_b32_f16 v42, v43, v55
	s_wait_loadcnt 0x0
	v_lshrrev_b32_e32 v199, 16, v198
	s_delay_alu instid0(VALU_DEP_1) | instskip(SKIP_1) | instid1(VALU_DEP_2)
	v_mul_f16_e64 v208, v200, v199
	v_mul_f16_e64 v199, v194, v199
	v_fma_f16 v194, v194, v198, -v208
	s_delay_alu instid0(VALU_DEP_2) | instskip(SKIP_2) | instid1(VALU_DEP_3)
	v_fmac_f16_e64 v199, v200, v198
	v_lshrrev_b32_e32 v198, 16, v201
	v_lshrrev_b32_e32 v200, 16, v57
	v_pack_b32_f16 v43, v194, v199
	s_delay_alu instid0(VALU_DEP_2) | instskip(SKIP_4) | instid1(VALU_DEP_1)
	v_mul_f16_e64 v208, v200, v198
	v_mul_f16_e64 v198, v57, v198
	ds_store_2addr_b32 v53, v42, v43 offset0:136 offset1:192
	v_fma_f16 v57, v57, v201, -v208
	v_fmac_f16_e64 v198, v200, v201
	v_pack_b32_f16 v42, v57, v198
	ds_store_b32 v61, v42 offset:4368
	s_and_saveexec_b32 s2, vcc_lo
	s_cbranch_execz .LBB0_17
; %bb.16:
	s_wait_alu 0xfffe
	v_add_co_u32 v41, s0, s0, v41
	s_wait_alu 0xf1ff
	v_add_co_ci_u32_e64 v42, null, s1, 0, s0
	s_clause 0x1
	global_load_b32 v43, v[41:42], off offset:2240
	global_load_b32 v41, v[41:42], off offset:4592
	ds_load_b32 v42, v61 offset:2240
	ds_load_b32 v44, v61 offset:4592
	s_wait_dscnt 0x1
	v_lshrrev_b32_e32 v47, 16, v42
	s_wait_dscnt 0x0
	v_lshrrev_b32_e32 v49, 16, v44
	s_wait_loadcnt 0x1
	v_lshrrev_b32_e32 v48, 16, v43
	s_wait_loadcnt 0x0
	v_lshrrev_b32_e32 v50, 16, v41
	s_delay_alu instid0(VALU_DEP_2) | instskip(SKIP_1) | instid1(VALU_DEP_3)
	v_mul_f16_e32 v52, v47, v48
	v_mul_f16_e32 v48, v42, v48
	;; [unrolled: 1-line block ×4, first 2 shown]
	s_delay_alu instid0(VALU_DEP_4) | instskip(NEXT) | instid1(VALU_DEP_4)
	v_fma_f16 v42, v42, v43, -v52
	v_fmac_f16_e32 v48, v47, v43
	s_delay_alu instid0(VALU_DEP_4) | instskip(NEXT) | instid1(VALU_DEP_4)
	v_fma_f16 v43, v44, v41, -v55
	v_fmac_f16_e32 v50, v49, v41
	s_delay_alu instid0(VALU_DEP_3) | instskip(NEXT) | instid1(VALU_DEP_2)
	v_pack_b32_f16 v41, v42, v48
	v_pack_b32_f16 v42, v43, v50
	ds_store_b32 v61, v41 offset:2240
	ds_store_b32 v61, v42 offset:4592
.LBB0_17:
	s_wait_alu 0xfffe
	s_or_b32 exec_lo, exec_lo, s2
	global_wb scope:SCOPE_SE
	s_wait_dscnt 0x0
	s_barrier_signal -1
	s_barrier_wait -1
	global_inv scope:SCOPE_SE
	ds_load_2addr_b32 v[49:50], v61 offset1:56
	ds_load_2addr_b32 v[55:56], v45 offset0:76 offset1:132
	ds_load_2addr_b32 v[47:48], v61 offset0:112 offset1:168
	;; [unrolled: 1-line block ×9, first 2 shown]
	v_lshlrev_b32_e32 v195, 2, v128
	v_lshlrev_b32_e32 v194, 2, v129
	s_and_saveexec_b32 s0, vcc_lo
	s_cbranch_execz .LBB0_19
; %bb.18:
	ds_load_b32 v192, v61 offset:2240
	ds_load_b32 v151, v61 offset:4592
	s_wait_dscnt 0x1
	v_lshrrev_b32_e32 v193, 16, v192
	s_wait_dscnt 0x0
	v_lshrrev_b32_e32 v152, 16, v151
.LBB0_19:
	s_wait_alu 0xfffe
	s_or_b32 exec_lo, exec_lo, s0
	s_wait_dscnt 0x8
	v_pk_add_f16 v55, v49, v55 neg_lo:[0,1] neg_hi:[0,1]
	v_pk_add_f16 v197, v50, v56 neg_lo:[0,1] neg_hi:[0,1]
	s_wait_dscnt 0x6
	v_pk_add_f16 v57, v47, v57 neg_lo:[0,1] neg_hi:[0,1]
	v_pk_add_f16 v199, v48, v58 neg_lo:[0,1] neg_hi:[0,1]
	;; [unrolled: 3-line block ×3, first 2 shown]
	v_sub_f16_e64 v151, v192, v151
	v_sub_f16_e64 v152, v193, v152
	s_wait_dscnt 0x0
	v_pk_add_f16 v202, v42, v54 neg_lo:[0,1] neg_hi:[0,1]
	v_pk_fma_f16 v54, v49, 2.0, v55 op_sel_hi:[1,0,1] neg_lo:[0,0,1] neg_hi:[0,0,1]
	v_pk_add_f16 v51, v43, v51 neg_lo:[0,1] neg_hi:[0,1]
	v_pk_fma_f16 v196, v50, 2.0, v197 op_sel_hi:[1,0,1] neg_lo:[0,0,1] neg_hi:[0,0,1]
	;; [unrolled: 2-line block ×4, first 2 shown]
	v_pk_fma_f16 v58, v45, 2.0, v59 op_sel_hi:[1,0,1] neg_lo:[0,0,1] neg_hi:[0,0,1]
	v_fma_f16 v128, v192, 2.0, -v151
	v_fma_f16 v129, v193, 2.0, -v152
	global_wb scope:SCOPE_SE
	s_barrier_signal -1
	s_barrier_wait -1
	global_inv scope:SCOPE_SE
	ds_store_b64 v109, v[54:55]
	ds_store_b64 v110, v[196:197]
	;; [unrolled: 1-line block ×5, first 2 shown]
	v_pk_fma_f16 v59, v46, 2.0, v60 op_sel_hi:[1,0,1] neg_lo:[0,0,1] neg_hi:[0,0,1]
	v_pk_fma_f16 v50, v43, 2.0, v51 op_sel_hi:[1,0,1] neg_lo:[0,0,1] neg_hi:[0,0,1]
	;; [unrolled: 1-line block ×5, first 2 shown]
	ds_store_b64 v112, v[59:60]
	ds_store_b64 v114, v[50:51]
	ds_store_b64 v195, v[199:200]
	ds_store_b64 v117, v[52:53]
	ds_store_b64 v194, v[201:202]
	s_and_saveexec_b32 s0, vcc_lo
	s_cbranch_execz .LBB0_21
; %bb.20:
	v_perm_b32 v42, v152, v151, 0x5040100
	v_perm_b32 v41, v129, v128, 0x5040100
	ds_store_b64 v116, v[41:42]
.LBB0_21:
	s_wait_alu 0xfffe
	s_or_b32 exec_lo, exec_lo, s0
	v_add_nc_u32_e32 v41, 0x800, v61
	v_add_nc_u32_e32 v51, 0xc00, v61
	;; [unrolled: 1-line block ×5, first 2 shown]
	global_wb scope:SCOPE_SE
	s_wait_dscnt 0x0
	s_barrier_signal -1
	s_barrier_wait -1
	global_inv scope:SCOPE_SE
	ds_load_2addr_b32 v[49:50], v61 offset1:56
	ds_load_2addr_b32 v[59:60], v41 offset0:76 offset1:132
	ds_load_2addr_b32 v[47:48], v61 offset0:112 offset1:168
	;; [unrolled: 1-line block ×9, first 2 shown]
	s_and_saveexec_b32 s0, vcc_lo
	s_cbranch_execz .LBB0_23
; %bb.22:
	ds_load_b32 v128, v61 offset:2240
	ds_load_b32 v151, v61 offset:4592
	s_wait_dscnt 0x1
	v_lshrrev_b32_e32 v129, 16, v128
	s_wait_dscnt 0x0
	v_lshrrev_b32_e32 v152, 16, v151
.LBB0_23:
	s_wait_alu 0xfffe
	s_or_b32 exec_lo, exec_lo, s0
	s_wait_dscnt 0x8
	v_lshrrev_b32_e32 v110, 16, v59
	v_lshrrev_b32_e32 v112, 16, v60
	s_wait_dscnt 0x6
	v_lshrrev_b32_e32 v114, 16, v57
	v_lshrrev_b32_e32 v116, 16, v58
	v_mul_f16_e64 v203, v130, v59
	v_mul_f16_e64 v202, v130, v110
	;; [unrolled: 1-line block ×4, first 2 shown]
	s_wait_dscnt 0x4
	v_lshrrev_b32_e32 v192, 16, v55
	s_wait_dscnt 0x2
	v_lshrrev_b32_e32 v196, 16, v53
	v_fmac_f16_e64 v202, v106, v59
	v_fma_f16 v59, v106, v110, -v203
	v_fmac_f16_e64 v204, v106, v60
	v_mul_f16_e64 v60, v130, v114
	v_fma_f16 v110, v106, v112, -v206
	v_mul_f16_e64 v112, v130, v57
	v_mul_f16_e64 v203, v130, v116
	;; [unrolled: 1-line block ×3, first 2 shown]
	v_lshrrev_b32_e32 v194, 16, v56
	v_lshrrev_b32_e32 v198, 16, v54
	v_fmac_f16_e32 v60, v106, v57
	v_mul_f16_e64 v57, v130, v192
	v_fma_f16 v112, v106, v114, -v112
	v_fmac_f16_e64 v203, v106, v58
	v_fma_f16 v58, v106, v116, -v206
	v_mul_f16_e64 v114, v130, v55
	v_mul_f16_e64 v206, v130, v196
	s_wait_dscnt 0x0
	v_lshrrev_b32_e32 v200, 16, v51
	v_lshrrev_b32_e32 v205, 16, v52
	v_fmac_f16_e32 v57, v106, v55
	v_mul_f16_e64 v55, v130, v194
	v_mul_f16_e64 v116, v130, v56
	v_fma_f16 v114, v106, v192, -v114
	v_mul_f16_e64 v192, v130, v53
	v_fmac_f16_e64 v206, v106, v53
	v_mul_f16_e64 v53, v130, v198
	v_fmac_f16_e32 v55, v106, v56
	v_fma_f16 v56, v106, v194, -v116
	v_fma_f16 v116, v106, v196, -v192
	v_mul_f16_e64 v192, v130, v54
	v_mul_f16_e64 v194, v130, v200
	;; [unrolled: 1-line block ×3, first 2 shown]
	v_fmac_f16_e32 v53, v106, v54
	v_mul_f16_e64 v54, v130, v205
	v_lshrrev_b32_e32 v109, 16, v49
	v_lshrrev_b32_e32 v111, 16, v50
	v_fmac_f16_e64 v194, v106, v51
	v_fma_f16 v51, v106, v200, -v196
	v_mul_f16_e64 v196, v130, v52
	v_fmac_f16_e32 v54, v106, v52
	v_mul_f16_e64 v52, v130, v152
	v_mul_f16_e64 v130, v130, v151
	v_lshrrev_b32_e32 v113, 16, v47
	v_lshrrev_b32_e32 v115, 16, v48
	v_lshrrev_b32_e32 v117, 16, v45
	v_lshrrev_b32_e32 v193, 16, v46
	v_fma_f16 v192, v106, v198, -v192
	v_sub_f16_e64 v198, v49, v202
	v_sub_f16_e32 v59, v109, v59
	v_lshrrev_b32_e32 v195, 16, v43
	v_fma_f16 v196, v106, v205, -v196
	v_fmac_f16_e64 v52, v106, v151
	v_fma_f16 v106, v106, v152, -v130
	v_sub_f16_e64 v130, v50, v204
	v_sub_f16_e64 v152, v111, v110
	v_lshrrev_b32_e32 v197, 16, v44
	v_sub_f16_e32 v60, v47, v60
	v_sub_f16_e32 v112, v113, v112
	v_lshrrev_b32_e32 v199, 16, v41
	v_sub_f16_e64 v200, v48, v203
	v_sub_f16_e32 v58, v115, v58
	v_lshrrev_b32_e32 v201, 16, v42
	v_sub_f16_e32 v57, v45, v57
	v_sub_f16_e32 v114, v117, v114
	v_fma_f16 v49, v49, 2.0, -v198
	v_fma_f16 v151, v109, 2.0, -v59
	v_sub_f16_e32 v55, v46, v55
	v_sub_f16_e64 v56, v193, v56
	v_fma_f16 v50, v50, 2.0, -v130
	v_fma_f16 v202, v111, 2.0, -v152
	v_sub_f16_e64 v203, v43, v206
	v_sub_f16_e64 v116, v195, v116
	;; [unrolled: 1-line block ×3, first 2 shown]
	v_fma_f16 v47, v47, 2.0, -v60
	v_fma_f16 v113, v113, 2.0, -v112
	v_sub_f16_e32 v53, v44, v53
	v_sub_f16_e64 v192, v197, v192
	v_fma_f16 v48, v48, 2.0, -v200
	v_fma_f16 v115, v115, 2.0, -v58
	v_sub_f16_e64 v194, v41, v194
	v_sub_f16_e64 v51, v199, v51
	v_fma_f16 v45, v45, 2.0, -v57
	v_fma_f16 v117, v117, 2.0, -v114
	v_sub_f16_e32 v54, v42, v54
	v_sub_f16_e64 v196, v201, v196
	v_fma_f16 v46, v46, 2.0, -v55
	v_fma_f16 v193, v193, 2.0, -v56
	v_sub_f16_e64 v111, v129, v106
	v_pack_b32_f16 v49, v49, v151
	v_pack_b32_f16 v59, v198, v59
	v_fma_f16 v43, v43, 2.0, -v203
	v_fma_f16 v195, v195, 2.0, -v116
	;; [unrolled: 1-line block ×3, first 2 shown]
	v_pack_b32_f16 v50, v50, v202
	v_pack_b32_f16 v128, v130, v152
	v_fma_f16 v44, v44, 2.0, -v53
	v_fma_f16 v197, v197, 2.0, -v192
	v_pack_b32_f16 v47, v47, v113
	v_pack_b32_f16 v60, v60, v112
	v_fma_f16 v41, v41, 2.0, -v194
	v_fma_f16 v52, v199, 2.0, -v51
	v_pack_b32_f16 v48, v48, v115
	v_pack_b32_f16 v58, v200, v58
	v_fma_f16 v42, v42, 2.0, -v54
	v_fma_f16 v199, v201, 2.0, -v196
	v_pack_b32_f16 v45, v45, v117
	v_pack_b32_f16 v57, v57, v114
	v_fma_f16 v110, v129, 2.0, -v111
	global_wb scope:SCOPE_SE
	s_barrier_signal -1
	s_barrier_wait -1
	global_inv scope:SCOPE_SE
	ds_store_2addr_b32 v123, v49, v59 offset1:2
	ds_store_2addr_b32 v124, v50, v128 offset1:2
	;; [unrolled: 1-line block ×5, first 2 shown]
	v_pack_b32_f16 v45, v46, v193
	v_pack_b32_f16 v46, v55, v56
	v_pack_b32_f16 v43, v43, v195
	v_pack_b32_f16 v47, v203, v116
	v_pack_b32_f16 v44, v44, v197
	v_pack_b32_f16 v48, v53, v192
	v_pack_b32_f16 v41, v41, v52
	v_pack_b32_f16 v49, v194, v51
	v_pack_b32_f16 v42, v42, v199
	v_pack_b32_f16 v50, v54, v196
	ds_store_2addr_b32 v118, v45, v46 offset1:2
	ds_store_2addr_b32 v119, v43, v47 offset1:2
	;; [unrolled: 1-line block ×5, first 2 shown]
	s_and_saveexec_b32 s0, vcc_lo
	s_cbranch_execz .LBB0_25
; %bb.24:
	v_and_or_b32 v41, 0x4fc, v104, v105
	v_perm_b32 v42, v110, v106, 0x5040100
	v_perm_b32 v43, v111, v109, 0x5040100
	s_delay_alu instid0(VALU_DEP_3)
	v_lshlrev_b32_e32 v41, 2, v41
	ds_store_2addr_b32 v41, v42, v43 offset1:2
.LBB0_25:
	s_wait_alu 0xfffe
	s_or_b32 exec_lo, exec_lo, s0
	v_add_nc_u32_e32 v41, 0x800, v61
	v_add_nc_u32_e32 v51, 0xc00, v61
	;; [unrolled: 1-line block ×5, first 2 shown]
	global_wb scope:SCOPE_SE
	s_wait_dscnt 0x0
	s_barrier_signal -1
	s_barrier_wait -1
	global_inv scope:SCOPE_SE
	ds_load_2addr_b32 v[49:50], v61 offset1:56
	ds_load_2addr_b32 v[59:60], v41 offset0:76 offset1:132
	ds_load_2addr_b32 v[47:48], v61 offset0:112 offset1:168
	;; [unrolled: 1-line block ×9, first 2 shown]
	s_and_saveexec_b32 s0, vcc_lo
	s_cbranch_execz .LBB0_27
; %bb.26:
	ds_load_b32 v106, v61 offset:2240
	ds_load_b32 v109, v61 offset:4592
	s_wait_dscnt 0x1
	v_lshrrev_b32_e32 v110, 16, v106
	s_wait_dscnt 0x0
	v_lshrrev_b32_e32 v111, 16, v109
.LBB0_27:
	s_wait_alu 0xfffe
	s_or_b32 exec_lo, exec_lo, s0
	s_wait_dscnt 0x8
	v_lshrrev_b32_e32 v112, 16, v59
	v_lshrrev_b32_e32 v114, 16, v60
	s_wait_dscnt 0x6
	v_lshrrev_b32_e32 v116, 16, v57
	v_mul_f16_e64 v193, v131, v60
	v_lshrrev_b32_e32 v118, 16, v58
	v_mul_f16_e64 v130, v131, v112
	v_mul_f16_e64 v192, v131, v114
	s_wait_dscnt 0x4
	v_lshrrev_b32_e32 v120, 16, v55
	v_mul_f16_e64 v152, v131, v59
	v_lshrrev_b32_e32 v122, 16, v56
	v_fmac_f16_e64 v130, v108, v59
	v_mul_f16_e64 v59, v131, v116
	v_fmac_f16_e64 v192, v108, v60
	v_fma_f16 v60, v108, v114, -v193
	v_mul_f16_e64 v114, v131, v57
	v_fma_f16 v112, v108, v112, -v152
	v_fmac_f16_e32 v59, v108, v57
	v_mul_f16_e64 v57, v131, v118
	v_mul_f16_e64 v152, v131, v58
	v_mul_f16_e64 v193, v131, v120
	s_wait_dscnt 0x2
	v_lshrrev_b32_e32 v124, 16, v53
	v_fma_f16 v114, v108, v116, -v114
	v_mul_f16_e64 v116, v131, v55
	v_lshrrev_b32_e32 v126, 16, v54
	v_fmac_f16_e32 v57, v108, v58
	v_fma_f16 v58, v108, v118, -v152
	v_fmac_f16_e64 v193, v108, v55
	v_mul_f16_e64 v55, v131, v122
	v_mul_f16_e64 v118, v131, v56
	s_wait_dscnt 0x0
	v_lshrrev_b32_e32 v151, 16, v52
	v_fma_f16 v116, v108, v120, -v116
	v_mul_f16_e64 v120, v131, v124
	v_mul_f16_e64 v152, v131, v53
	v_lshrrev_b32_e32 v128, 16, v51
	v_fmac_f16_e32 v55, v108, v56
	v_mul_f16_e64 v56, v131, v126
	v_fma_f16 v118, v108, v122, -v118
	v_mul_f16_e64 v122, v131, v54
	v_lshrrev_b32_e32 v105, 16, v49
	v_fmac_f16_e32 v120, v108, v53
	v_fma_f16 v53, v108, v124, -v152
	v_mul_f16_e64 v152, v131, v151
	v_lshrrev_b32_e32 v113, 16, v50
	v_fmac_f16_e32 v56, v108, v54
	v_mul_f16_e64 v54, v131, v128
	v_mul_f16_e64 v124, v131, v51
	v_fma_f16 v122, v108, v126, -v122
	v_mul_f16_e64 v126, v131, v52
	v_lshrrev_b32_e32 v115, 16, v47
	v_lshrrev_b32_e32 v117, 16, v48
	;; [unrolled: 1-line block ×4, first 2 shown]
	v_fmac_f16_e64 v152, v108, v52
	v_sub_f16_e64 v52, v49, v130
	v_sub_f16_e32 v112, v105, v112
	v_lshrrev_b32_e32 v123, 16, v43
	v_fmac_f16_e32 v54, v108, v51
	v_fma_f16 v51, v108, v128, -v124
	v_fma_f16 v124, v108, v151, -v126
	v_sub_f16_e64 v126, v50, v192
	v_sub_f16_e32 v60, v113, v60
	v_lshrrev_b32_e32 v125, 16, v44
	v_sub_f16_e32 v59, v47, v59
	v_sub_f16_e32 v114, v115, v114
	v_lshrrev_b32_e32 v127, 16, v41
	v_sub_f16_e32 v57, v48, v57
	v_sub_f16_e32 v58, v117, v58
	v_lshrrev_b32_e32 v129, 16, v42
	v_sub_f16_e64 v128, v45, v193
	v_sub_f16_e32 v116, v119, v116
	v_fma_f16 v49, v49, 2.0, -v52
	v_fma_f16 v105, v105, 2.0, -v112
	v_sub_f16_e32 v55, v46, v55
	v_sub_f16_e32 v118, v121, v118
	v_fma_f16 v50, v50, 2.0, -v126
	v_fma_f16 v113, v113, 2.0, -v60
	v_sub_f16_e32 v120, v43, v120
	v_sub_f16_e32 v53, v123, v53
	v_fma_f16 v47, v47, 2.0, -v59
	v_fma_f16 v115, v115, 2.0, -v114
	v_sub_f16_e32 v56, v44, v56
	v_sub_f16_e32 v122, v125, v122
	v_fma_f16 v48, v48, 2.0, -v57
	v_fma_f16 v117, v117, 2.0, -v58
	v_sub_f16_e32 v54, v41, v54
	v_sub_f16_e32 v51, v127, v51
	v_fma_f16 v45, v45, 2.0, -v128
	v_fma_f16 v119, v119, 2.0, -v116
	v_sub_f16_e64 v130, v42, v152
	v_sub_f16_e64 v124, v129, v124
	v_fma_f16 v46, v46, 2.0, -v55
	v_fma_f16 v121, v121, 2.0, -v118
	v_pack_b32_f16 v49, v49, v105
	v_pack_b32_f16 v52, v52, v112
	v_fma_f16 v43, v43, 2.0, -v120
	v_fma_f16 v123, v123, 2.0, -v53
	v_pack_b32_f16 v50, v50, v113
	v_pack_b32_f16 v60, v126, v60
	;; [unrolled: 4-line block ×5, first 2 shown]
	global_wb scope:SCOPE_SE
	s_barrier_signal -1
	s_barrier_wait -1
	global_inv scope:SCOPE_SE
	ds_store_2addr_b32 v137, v49, v52 offset1:4
	ds_store_2addr_b32 v138, v50, v60 offset1:4
	;; [unrolled: 1-line block ×5, first 2 shown]
	v_pack_b32_f16 v45, v46, v121
	v_pack_b32_f16 v46, v55, v118
	;; [unrolled: 1-line block ×10, first 2 shown]
	ds_store_2addr_b32 v132, v45, v46 offset1:4
	ds_store_2addr_b32 v133, v43, v47 offset1:4
	;; [unrolled: 1-line block ×5, first 2 shown]
	s_and_saveexec_b32 s0, vcc_lo
	s_cbranch_execz .LBB0_29
; %bb.28:
	v_mul_f16_e64 v41, v131, v111
	v_mul_f16_e64 v42, v131, v109
	v_and_or_b32 v43, 0x4f8, v104, v107
	s_delay_alu instid0(VALU_DEP_3) | instskip(NEXT) | instid1(VALU_DEP_3)
	v_fmac_f16_e32 v41, v108, v109
	v_fma_f16 v42, v108, v111, -v42
	s_delay_alu instid0(VALU_DEP_3) | instskip(NEXT) | instid1(VALU_DEP_3)
	v_lshlrev_b32_e32 v43, 2, v43
	v_sub_f16_e32 v41, v106, v41
	s_delay_alu instid0(VALU_DEP_3) | instskip(NEXT) | instid1(VALU_DEP_2)
	v_sub_f16_e32 v42, v110, v42
	v_fma_f16 v44, v106, 2.0, -v41
	s_delay_alu instid0(VALU_DEP_2) | instskip(SKIP_1) | instid1(VALU_DEP_2)
	v_fma_f16 v45, v110, 2.0, -v42
	v_pack_b32_f16 v41, v41, v42
	v_pack_b32_f16 v44, v44, v45
	ds_store_2addr_b32 v43, v44, v41 offset1:4
.LBB0_29:
	s_wait_alu 0xfffe
	s_or_b32 exec_lo, exec_lo, s0
	v_add_nc_u32_e32 v41, 0x400, v61
	v_add_nc_u32_e32 v42, 0xc00, v61
	global_wb scope:SCOPE_SE
	s_wait_dscnt 0x0
	s_barrier_signal -1
	s_barrier_wait -1
	global_inv scope:SCOPE_SE
	ds_load_2addr_b32 v[46:47], v61 offset1:56
	ds_load_2addr_b32 v[48:49], v41 offset0:80 offset1:136
	ds_load_2addr_b32 v[50:51], v42 offset0:16 offset1:72
	;; [unrolled: 1-line block ×4, first 2 shown]
	v_add_nc_u32_e32 v44, 0x800, v61
	v_add_nc_u32_e32 v43, 0x200, v61
	;; [unrolled: 1-line block ×3, first 2 shown]
	ds_load_2addr_b32 v[54:55], v61 offset0:112 offset1:168
	ds_load_2addr_b32 v[58:59], v44 offset0:48 offset1:104
	;; [unrolled: 1-line block ×5, first 2 shown]
	ds_load_b32 v60, v61 offset:4480
	global_wb scope:SCOPE_SE
	s_wait_dscnt 0x0
	s_barrier_signal -1
	s_barrier_wait -1
	global_inv scope:SCOPE_SE
	s_mov_b32 s10, 0x899406f7
	s_mov_b32 s11, 0x3f4bdd2b
	v_lshrrev_b32_e32 v110, 16, v46
	v_lshrrev_b32_e32 v112, 16, v49
	v_lshrrev_b32_e32 v113, 16, v50
	v_lshrrev_b32_e32 v114, 16, v52
	v_mul_f16_e64 v131, v143, v49
	v_lshrrev_b32_e32 v115, 16, v51
	v_mul_f16_e64 v129, v143, v112
	v_mul_f16_e64 v133, v142, v113
	v_lshrrev_b32_e32 v117, 16, v53
	v_fma_f16 v112, v27, v112, -v131
	v_mul_f16_e64 v131, v143, v114
	v_fmac_f16_e64 v129, v27, v49
	v_mul_f16_e64 v49, v142, v50
	v_lshrrev_b32_e32 v118, 16, v56
	v_fmac_f16_e64 v133, v28, v50
	v_mul_f16_e64 v50, v143, v52
	v_fmac_f16_e64 v131, v27, v52
	v_fma_f16 v49, v28, v113, -v49
	v_mul_f16_e64 v113, v142, v115
	v_mul_f16_e64 v52, v142, v51
	v_lshrrev_b32_e32 v120, 16, v58
	v_fma_f16 v50, v27, v114, -v50
	v_mul_f16_e64 v114, v143, v117
	v_fmac_f16_e32 v113, v28, v51
	v_mul_f16_e64 v51, v143, v53
	v_fma_f16 v52, v28, v115, -v52
	v_mul_f16_e64 v115, v142, v118
	v_lshrrev_b32_e32 v121, 16, v57
	v_lshrrev_b32_e32 v123, 16, v59
	v_fmac_f16_e32 v114, v27, v53
	v_mul_f16_e64 v53, v142, v56
	v_fma_f16 v51, v27, v117, -v51
	v_mul_f16_e64 v117, v143, v120
	v_fmac_f16_e32 v115, v28, v56
	v_mul_f16_e64 v56, v143, v58
	v_lshrrev_b32_e32 v124, 16, v106
	v_fma_f16 v53, v28, v118, -v53
	v_mul_f16_e64 v118, v142, v121
	v_fmac_f16_e32 v117, v27, v58
	v_mul_f16_e64 v58, v142, v57
	v_fma_f16 v56, v27, v120, -v56
	v_mul_f16_e64 v120, v143, v123
	v_lshrrev_b32_e32 v126, 16, v108
	v_lshrrev_b32_e32 v127, 16, v107
	v_fmac_f16_e32 v118, v28, v57
	v_mul_f16_e64 v57, v143, v59
	v_fma_f16 v58, v28, v121, -v58
	v_mul_f16_e64 v121, v142, v124
	v_fmac_f16_e32 v120, v27, v59
	v_mul_f16_e64 v59, v142, v106
	v_lshrrev_b32_e32 v130, 16, v109
	v_fma_f16 v57, v27, v123, -v57
	v_mul_f16_e64 v123, v143, v126
	v_fmac_f16_e32 v121, v28, v106
	v_mul_f16_e64 v106, v143, v108
	v_fma_f16 v59, v28, v124, -v59
	v_mul_f16_e64 v124, v142, v127
	v_lshrrev_b32_e32 v132, 16, v60
	v_fmac_f16_e32 v123, v27, v108
	v_mul_f16_e64 v108, v142, v107
	v_fma_f16 v106, v27, v126, -v106
	v_mul_f16_e64 v126, v143, v130
	v_fmac_f16_e32 v124, v28, v107
	v_mul_f16_e64 v107, v143, v109
	v_fma_f16 v108, v28, v127, -v108
	v_mul_f16_e64 v127, v142, v132
	v_fmac_f16_e32 v126, v27, v109
	v_mul_f16_e64 v109, v142, v60
	v_fma_f16 v27, v27, v130, -v107
	v_add_f16_e64 v107, v129, v133
	v_fmac_f16_e32 v127, v28, v60
	v_add_f16_e64 v60, v46, v129
	v_fma_f16 v28, v28, v132, -v109
	v_add_f16_e32 v109, v112, v49
	v_fma_f16 v46, -0.5, v107, v46
	v_sub_f16_e32 v107, v112, v49
	v_lshrrev_b32_e32 v111, 16, v47
	v_add_f16_e32 v112, v110, v112
	v_fmac_f16_e32 v110, -0.5, v109
	v_sub_f16_e64 v109, v129, v133
	v_fma_f16 v129, 0xbaee, v107, v46
	v_fmac_f16_e32 v46, 0x3aee, v107
	v_add_f16_e64 v107, v131, v113
	v_add_f16_e32 v49, v112, v49
	v_fmamk_f16 v112, v109, 0x3aee, v110
	v_add_f16_e64 v130, v47, v131
	v_fmac_f16_e32 v110, 0xbaee, v109
	v_add_f16_e32 v109, v50, v52
	v_fmac_f16_e32 v47, -0.5, v107
	v_sub_f16_e32 v107, v50, v52
	v_add_f16_e32 v50, v111, v50
	v_lshrrev_b32_e32 v116, 16, v54
	v_fmac_f16_e32 v111, -0.5, v109
	v_sub_f16_e64 v109, v131, v113
	v_add_f16_e64 v130, v130, v113
	v_add_f16_e32 v50, v50, v52
	v_add_f16_e32 v52, v114, v115
	v_fmamk_f16 v113, v107, 0xbaee, v47
	v_fmac_f16_e32 v47, 0x3aee, v107
	v_fmamk_f16 v107, v109, 0x3aee, v111
	v_add_f16_e64 v131, v54, v114
	v_fmac_f16_e32 v111, 0xbaee, v109
	v_add_f16_e32 v109, v51, v53
	v_fma_f16 v52, -0.5, v52, v54
	v_sub_f16_e32 v54, v51, v53
	v_add_f16_e32 v51, v116, v51
	v_lshrrev_b32_e32 v119, 16, v55
	v_fmac_f16_e32 v116, -0.5, v109
	v_sub_f16_e32 v109, v114, v115
	v_add_f16_e64 v131, v131, v115
	v_add_f16_e32 v51, v51, v53
	v_add_f16_e32 v53, v117, v118
	v_fmamk_f16 v114, v54, 0xbaee, v52
	v_fmac_f16_e32 v52, 0x3aee, v54
	v_fmamk_f16 v54, v109, 0x3aee, v116
	v_add_f16_e32 v115, v55, v117
	v_fmac_f16_e32 v116, 0xbaee, v109
	v_add_f16_e32 v109, v56, v58
	v_fmac_f16_e32 v55, -0.5, v53
	v_sub_f16_e32 v53, v56, v58
	v_add_f16_e32 v56, v119, v56
	v_lshrrev_b32_e32 v122, 16, v104
	v_fmac_f16_e32 v119, -0.5, v109
	v_sub_f16_e32 v109, v117, v118
	v_fmamk_f16 v117, v53, 0xbaee, v55
	v_fmac_f16_e32 v55, 0x3aee, v53
	v_add_f16_e32 v53, v56, v58
	v_add_f16_e32 v56, v120, v121
	;; [unrolled: 1-line block ×3, first 2 shown]
	v_fmamk_f16 v58, v109, 0x3aee, v119
	v_add_f16_e32 v118, v104, v120
	v_fmac_f16_e32 v119, 0xbaee, v109
	v_add_f16_e32 v109, v57, v59
	v_fma_f16 v56, -0.5, v56, v104
	v_sub_f16_e32 v104, v57, v59
	v_add_f16_e32 v57, v122, v57
	v_lshrrev_b32_e32 v125, 16, v105
	v_fmac_f16_e32 v122, -0.5, v109
	v_sub_f16_e32 v109, v120, v121
	v_add_f16_e32 v118, v118, v121
	v_add_f16_e32 v57, v57, v59
	v_add_f16_e32 v59, v123, v124
	v_fmamk_f16 v120, v104, 0xbaee, v56
	v_fmac_f16_e32 v56, 0x3aee, v104
	v_fmamk_f16 v104, v109, 0x3aee, v122
	v_add_f16_e32 v121, v105, v123
	v_fmac_f16_e32 v122, 0xbaee, v109
	v_add_f16_e32 v109, v106, v108
	v_fmac_f16_e32 v105, -0.5, v59
	v_sub_f16_e32 v59, v106, v108
	v_add_f16_e32 v106, v125, v106
	v_add_f16_e64 v60, v60, v133
	v_fmac_f16_e32 v125, -0.5, v109
	v_sub_f16_e32 v109, v123, v124
	v_fmamk_f16 v123, v59, 0xbaee, v105
	v_fmac_f16_e32 v105, 0x3aee, v59
	v_add_f16_e32 v59, v106, v108
	v_add_f16_e32 v106, v126, v127
	v_lshrrev_b32_e32 v128, 16, v48
	v_add_f16_e32 v121, v121, v124
	v_fmamk_f16 v108, v109, 0x3aee, v125
	v_fmac_f16_e32 v125, 0xbaee, v109
	v_add_f16_e32 v109, v27, v28
	v_add_f16_e32 v124, v48, v126
	v_fmac_f16_e32 v48, -0.5, v106
	v_sub_f16_e32 v106, v27, v28
	v_pack_b32_f16 v49, v60, v49
	v_pack_b32_f16 v60, v129, v112
	;; [unrolled: 1-line block ×3, first 2 shown]
	v_add_f16_e64 v27, v128, v27
	v_fmac_f16_e64 v128, -0.5, v109
	v_sub_f16_e32 v109, v126, v127
	v_fmamk_f16 v126, v106, 0xbaee, v48
	v_fmac_f16_e32 v48, 0x3aee, v106
	v_pack_b32_f16 v50, v130, v50
	v_pack_b32_f16 v106, v113, v107
	;; [unrolled: 1-line block ×3, first 2 shown]
	ds_store_2addr_b32 v144, v49, v60 offset1:8
	ds_store_b32 v144, v46 offset:64
	ds_store_2addr_b32 v150, v50, v106 offset1:8
	ds_store_b32 v150, v47 offset:64
	v_pack_b32_f16 v46, v131, v51
	v_pack_b32_f16 v47, v114, v54
	;; [unrolled: 1-line block ×5, first 2 shown]
	v_add_f16_e32 v124, v124, v127
	v_add_f16_e32 v27, v27, v28
	v_fma_f16 v28, 0x3aee, v109, v128
	v_pack_b32_f16 v52, v55, v119
	v_fmac_f16_e64 v128, 0xbaee, v109
	v_pack_b32_f16 v53, v118, v57
	v_pack_b32_f16 v54, v120, v104
	ds_store_2addr_b32 v149, v46, v47 offset1:8
	ds_store_b32 v149, v49 offset:64
	ds_store_2addr_b32 v148, v50, v51 offset1:8
	ds_store_b32 v148, v52 offset:64
	ds_store_2addr_b32 v147, v53, v54 offset1:8
	v_pack_b32_f16 v46, v56, v122
	v_pack_b32_f16 v47, v121, v59
	;; [unrolled: 1-line block ×7, first 2 shown]
	ds_store_b32 v147, v46 offset:64
	ds_store_2addr_b32 v145, v47, v49 offset1:8
	ds_store_b32 v145, v50 offset:64
	ds_store_2addr_b32 v146, v27, v28 offset1:8
	ds_store_b32 v146, v48 offset:64
	global_wb scope:SCOPE_SE
	s_wait_dscnt 0x0
	s_barrier_signal -1
	s_barrier_wait -1
	global_inv scope:SCOPE_SE
	ds_load_2addr_b32 v[27:28], v61 offset1:56
	ds_load_2addr_b32 v[46:47], v61 offset0:112 offset1:168
	ds_load_2addr_b32 v[48:49], v41 offset0:80 offset1:136
	;; [unrolled: 1-line block ×9, first 2 shown]
	ds_load_b32 v109, v61 offset:4480
	global_wb scope:SCOPE_SE
	s_wait_dscnt 0x0
	s_barrier_signal -1
	s_barrier_wait -1
	global_inv scope:SCOPE_SE
	v_lshrrev_b32_e32 v60, 16, v27
	v_lshrrev_b32_e32 v108, 16, v47
	v_lshrrev_b32_e32 v110, 16, v48
	v_lshrrev_b32_e32 v111, 16, v51
	v_lshrrev_b32_e32 v112, 16, v52
	v_lshrrev_b32_e32 v113, 16, v55
	v_mul_f16_e64 v125, v155, v108
	v_lshrrev_b32_e32 v114, 16, v56
	v_mul_f16_e64 v130, v158, v110
	v_mul_f16_e64 v131, v158, v48
	;; [unrolled: 1-line block ×3, first 2 shown]
	v_fmac_f16_e32 v125, v0, v47
	v_mul_f16_e64 v47, v155, v47
	v_lshrrev_b32_e32 v116, 16, v58
	v_lshrrev_b32_e32 v117, 16, v49
	v_mul_f16_e64 v133, v160, v51
	v_fmac_f16_e64 v130, v1, v48
	v_fma_f16 v0, v0, v108, -v47
	v_fma_f16 v1, v1, v110, -v131
	v_fmac_f16_e64 v132, v2, v51
	v_mul_f16_e64 v47, v159, v112
	v_mul_f16_e64 v48, v159, v52
	;; [unrolled: 1-line block ×5, first 2 shown]
	v_lshrrev_b32_e32 v118, 16, v104
	v_lshrrev_b32_e32 v119, 16, v53
	;; [unrolled: 1-line block ×3, first 2 shown]
	v_fmac_f16_e32 v47, v3, v52
	v_fma_f16 v3, v3, v112, -v48
	v_fmac_f16_e32 v51, v29, v55
	v_fma_f16 v29, v29, v113, -v108
	v_fmac_f16_e32 v110, v30, v56
	v_mul_f16_e64 v48, v154, v56
	v_mul_f16_e64 v52, v171, v116
	;; [unrolled: 1-line block ×5, first 2 shown]
	v_lshrrev_b32_e32 v121, 16, v57
	v_lshrrev_b32_e32 v123, 16, v59
	v_fma_f16 v30, v30, v114, -v48
	v_fmac_f16_e32 v52, v12, v58
	v_fma_f16 v12, v12, v116, -v55
	v_fmac_f16_e32 v56, v13, v49
	v_fma_f16 v13, v13, v117, -v108
	v_mul_f16_e64 v48, v173, v118
	v_mul_f16_e64 v49, v173, v104
	;; [unrolled: 1-line block ×4, first 2 shown]
	v_lshrrev_b32_e32 v124, 16, v50
	v_lshrrev_b32_e32 v127, 16, v54
	v_mul_f16_e64 v58, v165, v53
	v_fmac_f16_e32 v48, v14, v104
	v_fma_f16 v14, v14, v118, -v49
	v_fmac_f16_e32 v55, v15, v53
	v_fmac_f16_e32 v108, v35, v106
	v_mul_f16_e64 v49, v169, v106
	v_mul_f16_e64 v53, v163, v121
	;; [unrolled: 1-line block ×4, first 2 shown]
	v_lshrrev_b32_e32 v126, 16, v105
	v_lshrrev_b32_e32 v128, 16, v107
	v_fma_f16 v15, v15, v119, -v58
	v_mul_f16_e64 v58, v163, v57
	v_fma_f16 v35, v35, v120, -v49
	v_fmac_f16_e32 v53, v36, v57
	v_fmac_f16_e32 v104, v4, v59
	v_fma_f16 v4, v4, v123, -v106
	v_mul_f16_e64 v49, v179, v124
	v_mul_f16_e64 v57, v179, v50
	;; [unrolled: 1-line block ×3, first 2 shown]
	v_lshrrev_b32_e32 v129, 16, v109
	v_fma_f16 v36, v36, v121, -v58
	v_mul_f16_e64 v58, v180, v126
	v_mul_f16_e64 v59, v180, v105
	v_fmac_f16_e32 v49, v5, v50
	v_fma_f16 v5, v5, v124, -v57
	v_fmac_f16_e32 v106, v7, v54
	v_mul_f16_e64 v50, v176, v54
	v_mul_f16_e64 v54, v177, v128
	;; [unrolled: 1-line block ×3, first 2 shown]
	v_fma_f16 v2, v2, v111, -v133
	v_fmac_f16_e32 v58, v6, v105
	v_fma_f16 v6, v6, v126, -v59
	v_mul_f16_e64 v59, v178, v129
	v_mul_f16_e64 v105, v178, v109
	v_fma_f16 v7, v7, v127, -v50
	v_fmac_f16_e32 v54, v31, v107
	v_fma_f16 v31, v31, v128, -v57
	v_add_f16_e32 v50, v125, v110
	v_add_f16_e32 v57, v0, v30
	v_sub_f16_e32 v0, v0, v30
	v_add_f16_e64 v30, v130, v51
	v_add_f16_e32 v107, v1, v29
	v_fmac_f16_e32 v59, v32, v109
	v_fma_f16 v32, v32, v129, -v105
	v_sub_f16_e32 v105, v125, v110
	v_sub_f16_e64 v51, v130, v51
	v_sub_f16_e32 v1, v1, v29
	v_add_f16_e64 v29, v132, v47
	v_add_f16_e32 v109, v2, v3
	v_sub_f16_e64 v47, v47, v132
	v_sub_f16_e32 v2, v3, v2
	v_add_f16_e32 v3, v30, v50
	v_add_f16_e32 v110, v107, v57
	v_sub_f16_e32 v111, v30, v50
	v_sub_f16_e32 v112, v107, v57
	;; [unrolled: 1-line block ×6, first 2 shown]
	v_add_f16_e32 v113, v47, v51
	v_add_f16_e32 v114, v2, v1
	v_sub_f16_e32 v116, v47, v51
	v_sub_f16_e32 v117, v2, v1
	;; [unrolled: 1-line block ×3, first 2 shown]
	v_add_f16_e32 v3, v29, v3
	v_add_f16_e32 v29, v109, v110
	v_sub_f16_e32 v1, v1, v0
	v_sub_f16_e32 v47, v105, v47
	;; [unrolled: 1-line block ×3, first 2 shown]
	v_add_f16_e32 v105, v113, v105
	v_add_f16_e32 v0, v114, v0
	;; [unrolled: 1-line block ×4, first 2 shown]
	v_mul_f16_e32 v50, 0x3a52, v50
	v_mul_f16_e32 v57, 0x3a52, v57
	;; [unrolled: 1-line block ×8, first 2 shown]
	v_fmamk_f16 v3, v3, 0xbcab, v27
	v_fmamk_f16 v29, v29, 0xbcab, v60
	;; [unrolled: 1-line block ×4, first 2 shown]
	v_fma_f16 v109, v111, 0x39e0, -v109
	v_fma_f16 v110, v112, 0x39e0, -v110
	;; [unrolled: 1-line block ×4, first 2 shown]
	v_fmamk_f16 v111, v47, 0xb574, v113
	v_fmamk_f16 v112, v2, 0xb574, v114
	v_fma_f16 v47, v47, 0x3574, -v116
	v_fma_f16 v2, v2, 0x3574, -v117
	;; [unrolled: 1-line block ×4, first 2 shown]
	v_add_f16_e32 v30, v30, v3
	v_add_f16_e32 v107, v107, v29
	;; [unrolled: 1-line block ×6, first 2 shown]
	v_fmac_f16_e32 v111, 0xb70e, v105
	v_fmac_f16_e32 v112, 0xb70e, v0
	;; [unrolled: 1-line block ×6, first 2 shown]
	v_add_f16_e32 v0, v112, v30
	v_sub_f16_e32 v50, v107, v111
	v_add_f16_e32 v57, v2, v3
	v_sub_f16_e32 v105, v29, v47
	v_sub_f16_e32 v2, v3, v2
	v_add_f16_e32 v3, v47, v29
	v_sub_f16_e32 v29, v30, v112
	v_add_f16_e32 v30, v111, v107
	v_add_f16_e32 v47, v52, v53
	;; [unrolled: 1-line block ×3, first 2 shown]
	v_sub_f16_e32 v52, v52, v53
	v_sub_f16_e32 v12, v12, v36
	v_add_f16_e32 v36, v56, v108
	v_add_f16_e32 v53, v13, v35
	v_sub_f16_e32 v56, v56, v108
	v_sub_f16_e32 v13, v13, v35
	v_add_f16_e32 v35, v48, v55
	v_add_f16_e32 v108, v14, v15
	v_sub_f16_e32 v48, v55, v48
	v_sub_f16_e32 v14, v15, v14
	v_add_f16_e32 v15, v36, v47
	v_add_f16_e32 v55, v53, v107
	v_lshrrev_b32_e32 v115, 16, v28
	v_sub_f16_e32 v113, v109, v1
	v_add_f16_e32 v114, v51, v110
	v_add_f16_e32 v1, v1, v109
	v_sub_f16_e32 v51, v110, v51
	v_sub_f16_e32 v109, v36, v47
	;; [unrolled: 1-line block ×7, first 2 shown]
	v_add_f16_e32 v111, v48, v56
	v_add_f16_e32 v112, v14, v13
	v_sub_f16_e32 v116, v48, v56
	v_sub_f16_e32 v117, v14, v13
	;; [unrolled: 1-line block ×3, first 2 shown]
	v_add_f16_e32 v15, v35, v15
	v_add_f16_e32 v35, v108, v55
	v_sub_f16_e32 v13, v13, v12
	v_sub_f16_e32 v48, v52, v48
	v_sub_f16_e32 v14, v12, v14
	v_add_f16_e32 v52, v111, v52
	v_add_f16_e32 v12, v112, v12
	;; [unrolled: 1-line block ×4, first 2 shown]
	v_mul_f16_e32 v47, 0x3a52, v47
	v_mul_f16_e32 v107, 0x3a52, v107
	;; [unrolled: 1-line block ×8, first 2 shown]
	v_fmamk_f16 v15, v15, 0xbcab, v28
	v_fmamk_f16 v35, v35, 0xbcab, v55
	;; [unrolled: 1-line block ×4, first 2 shown]
	v_fma_f16 v108, v109, 0x39e0, -v108
	v_fma_f16 v111, v110, 0x39e0, -v111
	;; [unrolled: 1-line block ×4, first 2 shown]
	v_fmamk_f16 v109, v48, 0xb574, v112
	v_fmamk_f16 v110, v14, 0xb574, v115
	v_fma_f16 v48, v48, 0x3574, -v116
	v_fma_f16 v14, v14, 0x3574, -v117
	;; [unrolled: 1-line block ×4, first 2 shown]
	v_add_f16_e32 v36, v36, v15
	v_add_f16_e32 v53, v53, v35
	;; [unrolled: 1-line block ×6, first 2 shown]
	v_fmac_f16_e32 v109, 0xb70e, v52
	v_fmac_f16_e32 v110, 0xb70e, v12
	v_fmac_f16_e32 v14, 0xb70e, v12
	v_fmac_f16_e32 v48, 0xb70e, v52
	v_fmac_f16_e32 v56, 0xb70e, v52
	v_fmac_f16_e32 v13, 0xb70e, v12
	v_add_f16_e32 v12, v110, v36
	v_sub_f16_e32 v47, v53, v109
	v_add_f16_e32 v52, v14, v15
	v_sub_f16_e32 v107, v35, v48
	v_sub_f16_e32 v14, v15, v14
	v_add_f16_e32 v15, v48, v35
	v_sub_f16_e32 v35, v36, v110
	v_add_f16_e32 v36, v109, v53
	v_add_f16_e32 v48, v104, v59
	;; [unrolled: 1-line block ×3, first 2 shown]
	v_sub_f16_e32 v59, v104, v59
	v_sub_f16_e32 v4, v4, v32
	v_add_f16_e32 v32, v49, v54
	v_add_f16_e32 v104, v5, v31
	v_sub_f16_e32 v49, v49, v54
	v_sub_f16_e32 v5, v5, v31
	v_add_f16_e32 v31, v58, v106
	v_add_f16_e32 v54, v6, v7
	;; [unrolled: 4-line block ×3, first 2 shown]
	v_lshrrev_b32_e32 v122, 16, v46
	v_sub_f16_e32 v112, v108, v13
	v_add_f16_e32 v115, v56, v111
	v_add_f16_e32 v13, v13, v108
	v_sub_f16_e32 v56, v111, v56
	v_sub_f16_e32 v108, v32, v48
	;; [unrolled: 1-line block ×7, first 2 shown]
	v_add_f16_e32 v110, v58, v49
	v_add_f16_e32 v111, v6, v5
	v_sub_f16_e32 v116, v58, v49
	v_sub_f16_e32 v117, v6, v5
	v_add_f16_e32 v7, v31, v7
	v_add_f16_e32 v31, v54, v106
	v_sub_f16_e32 v49, v49, v59
	v_sub_f16_e32 v5, v5, v4
	;; [unrolled: 1-line block ×4, first 2 shown]
	v_add_f16_e32 v54, v110, v59
	v_add_f16_e32 v4, v111, v4
	;; [unrolled: 1-line block ×4, first 2 shown]
	v_mul_f16_e32 v48, 0x3a52, v48
	v_mul_f16_e32 v53, 0x3a52, v53
	;; [unrolled: 1-line block ×8, first 2 shown]
	v_fmamk_f16 v7, v7, 0xbcab, v46
	v_fmamk_f16 v31, v31, 0xbcab, v59
	;; [unrolled: 1-line block ×4, first 2 shown]
	v_fma_f16 v106, v108, 0x39e0, -v106
	v_fma_f16 v110, v109, 0x39e0, -v110
	;; [unrolled: 1-line block ×4, first 2 shown]
	v_fmamk_f16 v108, v58, 0xb574, v111
	v_fmamk_f16 v109, v6, 0xb574, v116
	v_fma_f16 v49, v49, 0xbb00, -v111
	v_fma_f16 v5, v5, 0xbb00, -v116
	;; [unrolled: 1-line block ×4, first 2 shown]
	v_pack_b32_f16 v27, v27, v60
	v_pack_b32_f16 v0, v0, v50
	v_add_f16_e32 v32, v32, v7
	v_add_f16_e32 v104, v104, v31
	v_fmac_f16_e32 v108, 0xb70e, v54
	v_fmac_f16_e32 v109, 0xb70e, v4
	v_pack_b32_f16 v50, v57, v105
	v_pack_b32_f16 v57, v113, v114
	v_add_f16_e32 v106, v106, v7
	v_add_f16_e32 v110, v110, v31
	;; [unrolled: 1-line block ×4, first 2 shown]
	v_fmac_f16_e32 v49, 0xb70e, v54
	v_fmac_f16_e32 v6, 0xb70e, v4
	;; [unrolled: 1-line block ×4, first 2 shown]
	ds_store_2addr_b32 v153, v27, v0 offset1:24
	ds_store_2addr_b32 v153, v50, v57 offset0:48 offset1:72
	v_pack_b32_f16 v0, v1, v51
	v_pack_b32_f16 v1, v2, v3
	v_add_f16_e32 v4, v109, v32
	v_sub_f16_e32 v48, v104, v108
	v_pack_b32_f16 v2, v29, v30
	v_add_f16_e32 v53, v6, v7
	v_sub_f16_e32 v54, v31, v58
	v_sub_f16_e32 v111, v106, v5
	v_add_f16_e32 v116, v49, v110
	v_pack_b32_f16 v3, v28, v55
	v_pack_b32_f16 v12, v12, v47
	v_add_f16_e32 v5, v5, v106
	v_sub_f16_e32 v49, v110, v49
	v_sub_f16_e32 v6, v7, v6
	v_add_f16_e32 v7, v58, v31
	v_pack_b32_f16 v27, v52, v107
	v_pack_b32_f16 v28, v112, v115
	v_sub_f16_e32 v31, v32, v109
	v_add_f16_e32 v32, v108, v104
	v_pack_b32_f16 v13, v13, v56
	v_pack_b32_f16 v14, v14, v15
	ds_store_2addr_b32 v153, v0, v1 offset0:96 offset1:120
	ds_store_b32 v153, v2 offset:576
	ds_store_2addr_b32 v156, v3, v12 offset1:24
	ds_store_2addr_b32 v156, v27, v28 offset0:48 offset1:72
	ds_store_2addr_b32 v156, v13, v14 offset0:96 offset1:120
	v_pack_b32_f16 v0, v35, v36
	v_pack_b32_f16 v1, v46, v59
	;; [unrolled: 1-line block ×8, first 2 shown]
	ds_store_b32 v156, v0 offset:576
	ds_store_2addr_b32 v161, v1, v2 offset1:24
	ds_store_2addr_b32 v161, v3, v4 offset0:48 offset1:72
	ds_store_2addr_b32 v161, v5, v6 offset0:96 offset1:120
	ds_store_b32 v161, v7 offset:576
	global_wb scope:SCOPE_SE
	s_wait_dscnt 0x0
	s_barrier_signal -1
	s_barrier_wait -1
	global_inv scope:SCOPE_SE
	ds_load_2addr_b32 v[0:1], v61 offset1:56
	ds_load_2addr_b32 v[2:3], v61 offset0:112 offset1:168
	ds_load_2addr_b32 v[4:5], v41 offset0:80 offset1:136
	;; [unrolled: 1-line block ×9, first 2 shown]
	ds_load_b32 v47, v61 offset:4480
	s_wait_dscnt 0xa
	v_lshrrev_b32_e32 v45, 16, v0
	s_wait_dscnt 0x9
	v_lshrrev_b32_e32 v46, 16, v3
	s_wait_dscnt 0x8
	v_lshrrev_b32_e32 v48, 16, v4
	s_wait_dscnt 0x7
	v_lshrrev_b32_e32 v49, 16, v7
	s_wait_dscnt 0x6
	v_lshrrev_b32_e32 v50, 16, v12
	s_wait_dscnt 0x5
	v_lshrrev_b32_e32 v51, 16, v15
	v_mul_f16_e64 v106, v174, v46
	s_wait_dscnt 0x4
	v_lshrrev_b32_e32 v52, 16, v27
	v_mul_f16_e64 v111, v162, v48
	v_mul_f16_e64 v112, v162, v4
	;; [unrolled: 1-line block ×3, first 2 shown]
	v_fmac_f16_e32 v106, v8, v3
	v_mul_f16_e64 v3, v174, v3
	v_mul_f16_e64 v114, v182, v7
	s_wait_dscnt 0x3
	v_lshrrev_b32_e32 v54, 16, v29
	v_lshrrev_b32_e32 v55, 16, v5
	v_fmac_f16_e32 v111, v9, v4
	v_fma_f16 v3, v8, v46, -v3
	v_fma_f16 v4, v9, v48, -v112
	v_fmac_f16_e32 v113, v10, v7
	v_fma_f16 v7, v10, v49, -v114
	v_mul_f16_e64 v8, v170, v50
	v_mul_f16_e64 v9, v170, v12
	;; [unrolled: 1-line block ×5, first 2 shown]
	s_wait_dscnt 0x2
	v_lshrrev_b32_e32 v56, 16, v31
	v_lshrrev_b32_e32 v57, 16, v13
	s_wait_dscnt 0x1
	v_lshrrev_b32_e32 v58, 16, v35
	v_fmac_f16_e32 v8, v11, v12
	v_fma_f16 v9, v11, v50, -v9
	v_fmac_f16_e32 v10, v33, v15
	v_fma_f16 v11, v33, v51, -v46
	v_fmac_f16_e32 v48, v34, v27
	v_mul_f16_e64 v12, v172, v27
	v_mul_f16_e64 v15, v185, v54
	;; [unrolled: 1-line block ×5, first 2 shown]
	v_lshrrev_b32_e32 v59, 16, v28
	v_lshrrev_b32_e32 v104, 16, v30
	v_fma_f16 v12, v34, v52, -v12
	v_fmac_f16_e32 v15, v16, v29
	v_fma_f16 v16, v16, v54, -v27
	v_fmac_f16_e32 v33, v17, v5
	v_fma_f16 v5, v17, v55, -v46
	v_mul_f16_e64 v17, v184, v56
	v_mul_f16_e64 v27, v184, v31
	;; [unrolled: 1-line block ×5, first 2 shown]
	v_lshrrev_b32_e32 v105, 16, v6
	v_lshrrev_b32_e32 v107, 16, v32
	;; [unrolled: 1-line block ×3, first 2 shown]
	v_fmac_f16_e32 v17, v18, v31
	v_fma_f16 v18, v18, v56, -v27
	v_fmac_f16_e32 v29, v19, v13
	v_fma_f16 v13, v19, v57, -v34
	v_fmac_f16_e32 v46, v37, v35
	v_mul_f16_e64 v19, v183, v35
	v_mul_f16_e64 v27, v167, v59
	v_mul_f16_e64 v31, v167, v28
	v_mul_f16_e64 v34, v191, v104
	v_mul_f16_e64 v35, v191, v30
	v_lshrrev_b32_e32 v109, 16, v36
	s_wait_dscnt 0x0
	v_lshrrev_b32_e32 v110, 16, v47
	v_fma_f16 v19, v37, v58, -v19
	v_fmac_f16_e32 v27, v38, v28
	v_fma_f16 v28, v38, v59, -v31
	v_fmac_f16_e32 v34, v20, v30
	v_fma_f16 v20, v20, v104, -v35
	v_mul_f16_e64 v30, v188, v105
	v_mul_f16_e64 v31, v188, v6
	;; [unrolled: 1-line block ×5, first 2 shown]
	v_fmac_f16_e32 v30, v21, v6
	v_fma_f16 v6, v21, v105, -v31
	v_fmac_f16_e32 v35, v22, v32
	v_fma_f16 v21, v22, v107, -v37
	v_fmac_f16_e32 v38, v23, v14
	v_mul_f16_e64 v14, v186, v14
	v_mul_f16_e64 v22, v187, v109
	;; [unrolled: 1-line block ×5, first 2 shown]
	v_fma_f16 v14, v23, v108, -v14
	v_fmac_f16_e32 v22, v39, v36
	v_fma_f16 v23, v39, v109, -v31
	v_fmac_f16_e32 v32, v40, v47
	v_fma_f16 v31, v40, v110, -v37
	v_add_f16_e32 v36, v106, v48
	v_add_f16_e32 v37, v3, v12
	v_sub_f16_e32 v3, v3, v12
	v_add_f16_e32 v12, v111, v10
	v_add_f16_e32 v40, v4, v11
	v_sub_f16_e32 v39, v106, v48
	v_sub_f16_e32 v10, v111, v10
	v_sub_f16_e32 v4, v4, v11
	v_add_f16_e32 v11, v113, v8
	v_add_f16_e32 v47, v7, v9
	v_sub_f16_e32 v8, v8, v113
	v_sub_f16_e32 v7, v9, v7
	v_add_f16_e32 v9, v12, v36
	v_add_f16_e32 v48, v40, v37
	v_sub_f16_e32 v49, v12, v36
	v_sub_f16_e32 v50, v40, v37
	;; [unrolled: 1-line block ×6, first 2 shown]
	v_add_f16_e32 v51, v8, v10
	v_add_f16_e32 v52, v7, v4
	v_sub_f16_e32 v54, v8, v10
	v_sub_f16_e32 v55, v7, v4
	;; [unrolled: 1-line block ×3, first 2 shown]
	v_add_f16_e32 v9, v11, v9
	v_add_f16_e32 v11, v47, v48
	v_sub_f16_e32 v4, v4, v3
	v_sub_f16_e32 v8, v39, v8
	;; [unrolled: 1-line block ×3, first 2 shown]
	v_add_f16_e32 v39, v51, v39
	v_add_f16_e32 v3, v52, v3
	;; [unrolled: 1-line block ×4, first 2 shown]
	v_mul_f16_e32 v36, 0x3a52, v36
	v_mul_f16_e32 v37, 0x3a52, v37
	;; [unrolled: 1-line block ×8, first 2 shown]
	v_fmamk_f16 v9, v9, 0xbcab, v0
	v_fmamk_f16 v11, v11, 0xbcab, v45
	;; [unrolled: 1-line block ×4, first 2 shown]
	v_fma_f16 v47, v49, 0x39e0, -v47
	v_fma_f16 v48, v50, 0x39e0, -v48
	;; [unrolled: 1-line block ×4, first 2 shown]
	v_fmamk_f16 v49, v8, 0xb574, v51
	v_fmamk_f16 v50, v7, 0xb574, v52
	v_fma_f16 v8, v8, 0x3574, -v54
	v_fma_f16 v7, v7, 0x3574, -v55
	;; [unrolled: 1-line block ×4, first 2 shown]
	v_add_f16_e32 v12, v12, v9
	v_add_f16_e32 v40, v40, v11
	;; [unrolled: 1-line block ×6, first 2 shown]
	v_fmac_f16_e32 v49, 0xb70e, v39
	v_fmac_f16_e32 v50, 0xb70e, v3
	;; [unrolled: 1-line block ×6, first 2 shown]
	v_add_f16_e32 v3, v50, v12
	v_sub_f16_e32 v36, v40, v49
	v_add_f16_e32 v37, v7, v9
	v_sub_f16_e32 v39, v11, v8
	v_sub_f16_e32 v7, v9, v7
	v_add_f16_e32 v8, v8, v11
	v_sub_f16_e32 v9, v12, v50
	v_add_f16_e32 v11, v49, v40
	v_add_f16_e32 v12, v15, v27
	;; [unrolled: 1-line block ×3, first 2 shown]
	v_sub_f16_e32 v15, v15, v27
	v_sub_f16_e32 v16, v16, v28
	v_add_f16_e32 v27, v33, v46
	v_add_f16_e32 v28, v5, v19
	v_sub_f16_e32 v33, v33, v46
	v_sub_f16_e32 v5, v5, v19
	v_add_f16_e32 v19, v17, v29
	v_add_f16_e32 v46, v18, v13
	;; [unrolled: 4-line block ×3, first 2 shown]
	v_lshrrev_b32_e32 v53, 16, v1
	v_sub_f16_e32 v51, v47, v4
	v_add_f16_e32 v52, v10, v48
	v_add_f16_e32 v4, v4, v47
	v_sub_f16_e32 v10, v48, v10
	v_sub_f16_e32 v47, v27, v12
	;; [unrolled: 1-line block ×7, first 2 shown]
	v_add_f16_e32 v49, v17, v33
	v_add_f16_e32 v50, v13, v5
	v_sub_f16_e32 v54, v17, v33
	v_sub_f16_e32 v55, v13, v5
	;; [unrolled: 1-line block ×3, first 2 shown]
	v_add_f16_e32 v18, v19, v18
	v_add_f16_e32 v19, v46, v29
	v_sub_f16_e32 v5, v5, v16
	v_sub_f16_e32 v17, v15, v17
	;; [unrolled: 1-line block ×3, first 2 shown]
	v_add_f16_e32 v15, v49, v15
	v_add_f16_e32 v16, v50, v16
	v_add_f16_e32 v1, v1, v18
	v_add_f16_e32 v29, v53, v19
	v_mul_f16_e32 v12, 0x3a52, v12
	v_mul_f16_e32 v40, 0x3a52, v40
	;; [unrolled: 1-line block ×8, first 2 shown]
	v_fmamk_f16 v18, v18, 0xbcab, v1
	v_fmamk_f16 v19, v19, 0xbcab, v29
	;; [unrolled: 1-line block ×4, first 2 shown]
	v_fma_f16 v46, v47, 0x39e0, -v46
	v_fma_f16 v49, v48, 0x39e0, -v49
	;; [unrolled: 1-line block ×4, first 2 shown]
	v_fmamk_f16 v47, v17, 0xb574, v50
	v_fmamk_f16 v48, v13, 0xb574, v53
	v_fma_f16 v17, v17, 0x3574, -v54
	v_fma_f16 v13, v13, 0x3574, -v55
	;; [unrolled: 1-line block ×4, first 2 shown]
	v_add_f16_e32 v27, v27, v18
	v_add_f16_e32 v28, v28, v19
	;; [unrolled: 1-line block ×5, first 2 shown]
	v_fmac_f16_e32 v47, 0xb70e, v15
	v_fmac_f16_e32 v48, 0xb70e, v16
	;; [unrolled: 1-line block ×4, first 2 shown]
	v_add_f16_e32 v49, v49, v19
	v_fmac_f16_e32 v33, 0xb70e, v15
	v_fmac_f16_e32 v5, 0xb70e, v16
	v_add_f16_e32 v15, v48, v27
	v_sub_f16_e32 v16, v28, v47
	v_add_f16_e32 v19, v13, v12
	v_sub_f16_e32 v40, v18, v17
	v_sub_f16_e32 v12, v12, v13
	v_add_f16_e32 v13, v17, v18
	v_sub_f16_e32 v17, v27, v48
	v_add_f16_e32 v18, v47, v28
	v_add_f16_e32 v27, v34, v32
	;; [unrolled: 1-line block ×3, first 2 shown]
	v_sub_f16_e32 v32, v34, v32
	v_sub_f16_e32 v20, v20, v31
	v_add_f16_e32 v31, v30, v22
	v_add_f16_e32 v34, v6, v23
	v_sub_f16_e32 v22, v30, v22
	v_sub_f16_e32 v6, v6, v23
	v_add_f16_e32 v23, v35, v38
	v_add_f16_e32 v30, v21, v14
	;; [unrolled: 4-line block ×3, first 2 shown]
	v_lshrrev_b32_e32 v60, 16, v2
	v_sub_f16_e32 v50, v46, v5
	v_add_f16_e32 v53, v33, v49
	v_add_f16_e32 v5, v5, v46
	v_sub_f16_e32 v33, v49, v33
	v_sub_f16_e32 v46, v31, v27
	;; [unrolled: 1-line block ×7, first 2 shown]
	v_add_f16_e32 v48, v35, v22
	v_add_f16_e32 v49, v14, v6
	v_sub_f16_e32 v54, v35, v22
	v_sub_f16_e32 v55, v14, v6
	;; [unrolled: 1-line block ×3, first 2 shown]
	v_add_f16_e32 v21, v23, v21
	v_add_f16_e32 v23, v30, v38
	v_sub_f16_e32 v6, v6, v20
	v_sub_f16_e32 v35, v32, v35
	;; [unrolled: 1-line block ×3, first 2 shown]
	v_add_f16_e32 v30, v48, v32
	v_add_f16_e32 v20, v49, v20
	;; [unrolled: 1-line block ×4, first 2 shown]
	v_mul_f16_e32 v27, 0x3a52, v27
	v_mul_f16_e32 v28, 0x3a52, v28
	;; [unrolled: 1-line block ×8, first 2 shown]
	v_fmamk_f16 v21, v21, 0xbcab, v2
	v_fmamk_f16 v23, v23, 0xbcab, v32
	;; [unrolled: 1-line block ×4, first 2 shown]
	v_fma_f16 v38, v46, 0x39e0, -v38
	v_fma_f16 v48, v47, 0x39e0, -v48
	;; [unrolled: 1-line block ×4, first 2 shown]
	v_fmamk_f16 v46, v35, 0xb574, v49
	v_fmamk_f16 v47, v14, 0xb574, v54
	v_fma_f16 v35, v35, 0x3574, -v55
	v_fma_f16 v14, v14, 0x3574, -v56
	;; [unrolled: 1-line block ×4, first 2 shown]
	v_add_f16_e32 v31, v31, v21
	v_add_f16_e32 v34, v34, v23
	;; [unrolled: 1-line block ×6, first 2 shown]
	v_fmac_f16_e32 v46, 0xb70e, v30
	v_fmac_f16_e32 v47, 0xb70e, v20
	;; [unrolled: 1-line block ×4, first 2 shown]
	v_pack_b32_f16 v3, v3, v36
	v_fmac_f16_e32 v22, 0xb70e, v30
	v_fmac_f16_e32 v6, 0xb70e, v20
	v_add_f16_e32 v20, v47, v31
	v_sub_f16_e32 v27, v34, v46
	v_add_f16_e32 v28, v14, v21
	v_sub_f16_e32 v30, v23, v35
	v_sub_f16_e32 v14, v21, v14
	v_add_f16_e32 v21, v35, v23
	v_sub_f16_e32 v23, v31, v47
	v_add_f16_e32 v31, v46, v34
	v_pack_b32_f16 v34, v37, v39
	v_pack_b32_f16 v35, v51, v52
	;; [unrolled: 1-line block ×7, first 2 shown]
	ds_store_b32 v61, v3 offset:672
	ds_store_b32 v61, v34 offset:1344
	;; [unrolled: 1-line block ×6, first 2 shown]
	ds_store_2addr_b32 v61, v0, v1 offset1:56
	v_pack_b32_f16 v3, v50, v53
	v_sub_f16_e32 v49, v38, v6
	v_add_f16_e32 v54, v22, v48
	v_pack_b32_f16 v4, v5, v33
	v_add_f16_e32 v6, v6, v38
	v_sub_f16_e32 v22, v48, v22
	v_pack_b32_f16 v5, v12, v13
	v_pack_b32_f16 v7, v17, v18
	;; [unrolled: 1-line block ×6, first 2 shown]
	ds_store_b32 v61, v3 offset:2240
	ds_store_b32 v61, v4 offset:2912
	;; [unrolled: 1-line block ×6, first 2 shown]
	ds_store_2addr_b32 v43, v0, v8 offset0:96 offset1:152
	v_pack_b32_f16 v0, v28, v30
	v_pack_b32_f16 v1, v49, v54
	;; [unrolled: 1-line block ×5, first 2 shown]
	ds_store_b32 v61, v0 offset:1792
	ds_store_b32 v61, v1 offset:2464
	ds_store_b32 v61, v2 offset:3136
	ds_store_b32 v61, v3 offset:3808
	ds_store_b32 v61, v4 offset:4480
	global_wb scope:SCOPE_SE
	s_wait_dscnt 0x0
	s_barrier_signal -1
	s_barrier_wait -1
	global_inv scope:SCOPE_SE
	ds_load_2addr_b32 v[0:1], v61 offset1:56
	ds_load_2addr_b32 v[6:7], v44 offset0:76 offset1:132
	s_wait_dscnt 0x1
	v_lshrrev_b32_e32 v4, 16, v0
	s_delay_alu instid0(VALU_DEP_1) | instskip(NEXT) | instid1(VALU_DEP_1)
	v_mul_f16_e32 v2, v103, v4
	v_fmac_f16_e32 v2, v101, v0
	v_mul_f16_e32 v0, v103, v0
	s_delay_alu instid0(VALU_DEP_2) | instskip(NEXT) | instid1(VALU_DEP_2)
	v_cvt_f32_f16_e32 v2, v2
	v_fma_f16 v0, v101, v4, -v0
	s_delay_alu instid0(VALU_DEP_2) | instskip(NEXT) | instid1(VALU_DEP_2)
	v_cvt_f64_f32_e32 v[2:3], v2
	v_cvt_f32_f16_e32 v0, v0
	s_delay_alu instid0(VALU_DEP_1) | instskip(SKIP_2) | instid1(VALU_DEP_1)
	v_cvt_f64_f32_e32 v[4:5], v0
	s_wait_dscnt 0x0
	v_lshrrev_b32_e32 v0, 16, v6
	v_mul_f16_e32 v8, v102, v0
	s_delay_alu instid0(VALU_DEP_1) | instskip(SKIP_1) | instid1(VALU_DEP_2)
	v_fmac_f16_e32 v8, v100, v6
	v_mul_f16_e32 v6, v102, v6
	v_cvt_f32_f16_e32 v8, v8
	s_delay_alu instid0(VALU_DEP_2) | instskip(NEXT) | instid1(VALU_DEP_1)
	v_fma_f16 v0, v100, v0, -v6
	v_cvt_f32_f16_e32 v0, v0
	s_wait_alu 0xfffe
	v_mul_f64_e32 v[2:3], s[10:11], v[2:3]
	v_mul_f64_e32 v[4:5], s[10:11], v[4:5]
	s_delay_alu instid0(VALU_DEP_2) | instskip(SKIP_2) | instid1(VALU_DEP_3)
	v_and_or_b32 v2, 0x1ff, v3, v2
	v_lshrrev_b32_e32 v9, 8, v3
	v_bfe_u32 v10, v3, 20, 11
	v_cmp_ne_u32_e64 s0, 0, v2
	v_and_or_b32 v4, 0x1ff, v5, v4
	s_delay_alu instid0(VALU_DEP_3)
	v_sub_nc_u32_e32 v11, 0x3f1, v10
	v_lshrrev_b32_e32 v14, 8, v5
	v_bfe_u32 v15, v5, 20, 11
	s_wait_alu 0xf1ff
	v_cndmask_b32_e64 v2, 0, 1, s0
	v_cmp_ne_u32_e64 s0, 0, v4
	v_med3_i32 v11, v11, 0, 13
	v_add_nc_u32_e32 v16, 0xfffffc10, v10
	s_delay_alu instid0(VALU_DEP_4) | instskip(SKIP_3) | instid1(VALU_DEP_3)
	v_and_or_b32 v2, 0xffe, v9, v2
	v_cvt_f64_f32_e32 v[8:9], v8
	s_wait_alu 0xf1ff
	v_cndmask_b32_e64 v4, 0, 1, s0
	v_or_b32_e32 v12, 0x1000, v2
	s_delay_alu instid0(VALU_DEP_2) | instskip(NEXT) | instid1(VALU_DEP_2)
	v_and_or_b32 v4, 0xffe, v14, v4
	v_lshrrev_b32_e32 v13, v11, v12
	s_delay_alu instid0(VALU_DEP_2) | instskip(NEXT) | instid1(VALU_DEP_2)
	v_or_b32_e32 v14, 0x1000, v4
	v_lshlrev_b32_e32 v11, v11, v13
	s_delay_alu instid0(VALU_DEP_1)
	v_cmp_ne_u32_e64 s0, v11, v12
	v_sub_nc_u32_e32 v12, 0x3f1, v15
	v_cvt_f64_f32_e32 v[10:11], v0
	v_add_nc_u32_e32 v15, 0xfffffc10, v15
	s_wait_alu 0xf1ff
	v_cndmask_b32_e64 v6, 0, 1, s0
	v_cmp_gt_i32_e64 s0, 1, v16
	v_med3_i32 v0, v12, 0, 13
	s_delay_alu instid0(VALU_DEP_3) | instskip(SKIP_1) | instid1(VALU_DEP_3)
	v_or_b32_e32 v6, v13, v6
	v_lshl_or_b32 v13, v16, 12, v2
	v_lshrrev_b32_e32 v17, v0, v14
	s_wait_alu 0xf1ff
	s_delay_alu instid0(VALU_DEP_2) | instskip(NEXT) | instid1(VALU_DEP_2)
	v_cndmask_b32_e64 v6, v13, v6, s0
	v_lshlrev_b32_e32 v0, v0, v17
	v_mul_f64_e32 v[8:9], s[10:11], v[8:9]
	s_delay_alu instid0(VALU_DEP_3) | instskip(SKIP_1) | instid1(VALU_DEP_4)
	v_and_b32_e32 v12, 7, v6
	v_lshrrev_b32_e32 v6, 2, v6
	v_cmp_ne_u32_e64 s2, v0, v14
	v_lshl_or_b32 v14, v15, 12, v4
	s_delay_alu instid0(VALU_DEP_4) | instskip(SKIP_4) | instid1(VALU_DEP_3)
	v_cmp_lt_i32_e64 s0, 5, v12
	v_cmp_eq_u32_e64 s1, 3, v12
	s_wait_alu 0xf1ff
	v_cndmask_b32_e64 v0, 0, 1, s2
	v_mad_co_u64_u32 v[12:13], null, s6, v26, 0
	s_or_b32 s0, s1, s0
	s_delay_alu instid0(VALU_DEP_2)
	v_or_b32_e32 v0, v17, v0
	s_wait_alu 0xfffe
	v_add_co_ci_u32_e64 v6, s0, 0, v6, s0
	v_cmp_ne_u32_e64 s0, 0, v2
	v_mul_f64_e32 v[10:11], s[10:11], v[10:11]
	s_wait_alu 0xf1ff
	s_delay_alu instid0(VALU_DEP_2) | instskip(SKIP_1) | instid1(VALU_DEP_2)
	v_cndmask_b32_e64 v2, 0, 1, s0
	v_cmp_gt_i32_e64 s0, 1, v15
	v_lshl_or_b32 v2, v2, 9, 0x7c00
	s_wait_alu 0xf1ff
	s_delay_alu instid0(VALU_DEP_2) | instskip(SKIP_2) | instid1(VALU_DEP_3)
	v_cndmask_b32_e64 v17, v14, v0, s0
	v_cmp_gt_i32_e64 s0, 31, v16
	v_mov_b32_e32 v0, v13
	v_and_b32_e32 v18, 7, v17
	s_wait_alu 0xf1ff
	s_delay_alu instid0(VALU_DEP_3)
	v_cndmask_b32_e64 v6, 0x7c00, v6, s0
	v_cmp_eq_u32_e64 s0, 0x40f, v16
	v_mad_co_u64_u32 v[13:14], null, s7, v26, v[0:1]
	v_cmp_eq_u32_e64 s1, 3, v18
	v_lshrrev_b32_e32 v16, 8, v9
	s_wait_alu 0xf1ff
	v_cndmask_b32_e64 v0, v6, v2, s0
	v_cmp_lt_i32_e64 s0, 5, v18
	v_lshrrev_b32_e32 v2, 2, v17
	v_lshrrev_b32_e32 v6, 16, v3
	v_and_or_b32 v3, 0x1ff, v9, v8
	v_lshrrev_b32_e32 v8, 16, v1
	s_or_b32 s0, s1, s0
	v_bfe_u32 v17, v9, 20, 11
	s_wait_alu 0xfffe
	v_add_co_ci_u32_e64 v2, s0, 0, v2, s0
	v_cmp_ne_u32_e64 s0, 0, v4
	v_mul_f16_e32 v14, v99, v8
	v_lshrrev_b32_e32 v18, 16, v5
	v_and_or_b32 v6, 0x8000, v6, v0
	v_lshrrev_b32_e32 v9, 16, v9
	s_wait_alu 0xf1ff
	v_cndmask_b32_e64 v4, 0, 1, s0
	v_cmp_ne_u32_e64 s0, 0, v3
	v_fmac_f16_e32 v14, v97, v1
	v_mul_f16_e32 v1, v99, v1
	v_and_or_b32 v10, 0x1ff, v11, v10
	v_lshl_or_b32 v4, v4, 9, 0x7c00
	s_wait_alu 0xf1ff
	v_cndmask_b32_e64 v3, 0, 1, s0
	v_cmp_gt_i32_e64 s0, 31, v15
	v_cvt_f32_f16_e32 v14, v14
	v_fma_f16 v8, v97, v8, -v1
	s_delay_alu instid0(VALU_DEP_4)
	v_and_or_b32 v16, 0xffe, v16, v3
	s_wait_alu 0xf1ff
	v_cndmask_b32_e64 v2, 0x7c00, v2, s0
	v_sub_nc_u32_e32 v3, 0x3f1, v17
	v_cmp_eq_u32_e64 s0, 0x40f, v15
	v_cvt_f32_f16_e32 v8, v8
	v_or_b32_e32 v19, 0x1000, v16
	v_add_nc_u32_e32 v17, 0xfffffc10, v17
	v_med3_i32 v20, v3, 0, 13
	s_wait_alu 0xf1ff
	v_cndmask_b32_e64 v15, v2, v4, s0
	v_cvt_f64_f32_e32 v[2:3], v14
	v_mad_co_u64_u32 v[4:5], null, s4, v94, 0
	v_cmp_ne_u32_e64 s0, 0, v10
	v_lshrrev_b32_e32 v21, v20, v19
	v_lshrrev_b32_e32 v14, 8, v11
	v_and_or_b32 v18, 0x8000, v18, v15
	s_wait_alu 0xf1ff
	v_cndmask_b32_e64 v10, 0, 1, s0
	v_dual_mov_b32 v0, v5 :: v_dual_lshlrev_b32 v5, v20, v21
	v_bfe_u32 v20, v11, 20, 11
	s_delay_alu instid0(VALU_DEP_3) | instskip(SKIP_1) | instid1(VALU_DEP_4)
	v_and_or_b32 v10, 0xffe, v14, v10
	v_cvt_f64_f32_e32 v[14:15], v8
	v_mad_co_u64_u32 v[0:1], null, s5, v94, v[0:1]
	s_delay_alu instid0(VALU_DEP_4)
	v_sub_nc_u32_e32 v1, 0x3f1, v20
	v_cmp_ne_u32_e64 s0, v5, v19
	v_or_b32_e32 v22, 0x1000, v10
	v_lshl_or_b32 v8, v17, 12, v16
	v_add_nc_u32_e32 v20, 0xfffffc10, v20
	v_med3_i32 v23, v1, 0, 13
	s_wait_alu 0xf1ff
	v_cndmask_b32_e64 v19, 0, 1, s0
	v_and_b32_e32 v1, 0xffff, v6
	v_cmp_gt_i32_e64 s0, 1, v17
	v_mov_b32_e32 v5, v0
	s_delay_alu instid0(VALU_DEP_4)
	v_or_b32_e32 v6, v21, v19
	v_lshrrev_b32_e32 v19, v23, v22
	v_lshl_or_b32 v18, v18, 16, v1
	v_lshlrev_b64_e32 v[0:1], 2, v[12:13]
	v_lshlrev_b64_e32 v[4:5], 2, v[4:5]
	s_wait_alu 0xf1ff
	v_cndmask_b32_e64 v6, v8, v6, s0
	v_lshlrev_b32_e32 v8, v23, v19
	v_lshrrev_b32_e32 v21, 16, v7
	v_add_co_u32 v0, s0, s8, v0
	v_mul_f64_e32 v[2:3], s[10:11], v[2:3]
	s_wait_alu 0xf1ff
	v_add_co_ci_u32_e64 v1, s0, s9, v1, s0
	v_cmp_ne_u32_e64 s0, v8, v22
	v_and_b32_e32 v12, 7, v6
	v_add_co_u32 v4, s2, v0, v4
	s_wait_alu 0xf1ff
	v_add_co_ci_u32_e64 v5, s2, v1, v5, s2
	v_cndmask_b32_e64 v8, 0, 1, s0
	v_cmp_lt_i32_e64 s0, 5, v12
	v_cmp_eq_u32_e64 s1, 3, v12
	v_lshrrev_b32_e32 v6, 2, v6
	v_lshl_or_b32 v12, v20, 12, v10
	v_or_b32_e32 v8, v19, v8
	v_cmp_gt_i32_e64 s2, 1, v20
	s_or_b32 s0, s1, s0
	global_store_b32 v[4:5], v18, off
	s_wait_alu 0xfffe
	v_add_co_ci_u32_e64 v6, s0, 0, v6, s0
	v_cndmask_b32_e64 v8, v12, v8, s2
	v_cmp_ne_u32_e64 s0, 0, v16
	v_mul_f64_e32 v[12:13], s[10:11], v[14:15]
	v_mul_f16_e32 v15, v98, v21
	v_cmp_eq_u32_e64 s2, 0x40f, v17
	v_and_b32_e32 v19, 7, v8
	s_wait_alu 0xf1ff
	v_cndmask_b32_e64 v16, 0, 1, s0
	v_cmp_gt_i32_e64 s0, 31, v17
	v_lshrrev_b32_e32 v8, 2, v8
	v_fmac_f16_e32 v15, v95, v7
	v_cmp_eq_u32_e64 s1, 3, v19
	v_lshl_or_b32 v14, v16, 9, 0x7c00
	s_wait_alu 0xf1ff
	v_cndmask_b32_e64 v6, 0x7c00, v6, s0
	v_cmp_lt_i32_e64 s0, 5, v19
	s_delay_alu instid0(VALU_DEP_2) | instskip(SKIP_1) | instid1(VALU_DEP_3)
	v_cndmask_b32_e64 v6, v6, v14, s2
	v_and_or_b32 v2, 0x1ff, v3, v2
	s_or_b32 s0, s1, s0
	v_cvt_f32_f16_e32 v14, v15
	s_wait_alu 0xfffe
	v_add_co_ci_u32_e64 v8, s0, 0, v8, s0
	v_cmp_ne_u32_e64 s0, 0, v2
	v_lshrrev_b32_e32 v16, 8, v3
	v_bfe_u32 v17, v3, 20, 11
	v_cvt_f64_f32_e32 v[14:15], v14
	v_and_or_b32 v6, 0x8000, v9, v6
	s_wait_alu 0xf1ff
	v_cndmask_b32_e64 v2, 0, 1, s0
	v_cmp_ne_u32_e64 s0, 0, v10
	s_delay_alu instid0(VALU_DEP_3) | instskip(NEXT) | instid1(VALU_DEP_3)
	v_and_b32_e32 v18, 0xffff, v6
	v_and_or_b32 v2, 0xffe, v16, v2
	s_wait_alu 0xf1ff
	s_delay_alu instid0(VALU_DEP_3)
	v_cndmask_b32_e64 v10, 0, 1, s0
	v_sub_nc_u32_e32 v16, 0x3f1, v17
	v_cmp_gt_i32_e64 s0, 31, v20
	v_mul_f16_e32 v6, v98, v7
	v_or_b32_e32 v19, 0x1000, v2
	v_lshl_or_b32 v10, v10, 9, 0x7c00
	v_med3_i32 v16, v16, 0, 13
	s_wait_alu 0xf1ff
	v_cndmask_b32_e64 v8, 0x7c00, v8, s0
	v_cmp_eq_u32_e64 s0, 0x40f, v20
	v_fma_f16 v6, v95, v21, -v6
	v_add_nc_u32_e32 v17, 0xfffffc10, v17
	v_lshrrev_b32_e32 v9, v16, v19
	s_wait_alu 0xf1ff
	v_cndmask_b32_e64 v8, v8, v10, s0
	v_lshrrev_b32_e32 v10, 16, v11
	v_and_or_b32 v11, 0x1ff, v13, v12
	v_lshlrev_b32_e32 v7, v16, v9
	v_bfe_u32 v16, v13, 20, 11
	v_cvt_f32_f16_e32 v6, v6
	v_and_or_b32 v12, 0x8000, v10, v8
	v_cmp_ne_u32_e64 s0, 0, v11
	v_lshrrev_b32_e32 v10, 8, v13
	v_lshl_or_b32 v21, v17, 12, v2
	s_delay_alu instid0(VALU_DEP_4) | instskip(SKIP_3) | instid1(VALU_DEP_2)
	v_lshl_or_b32 v12, v12, 16, v18
	s_wait_alu 0xf1ff
	v_cndmask_b32_e64 v8, 0, 1, s0
	v_cmp_ne_u32_e64 s0, v7, v19
	v_and_or_b32 v19, 0xffe, v10, v8
	s_wait_alu 0xf1ff
	s_delay_alu instid0(VALU_DEP_2)
	v_cndmask_b32_e64 v7, 0, 1, s0
	v_sub_nc_u32_e32 v8, 0x3f1, v16
	v_cmp_gt_i32_e64 s0, 1, v17
	v_mul_f64_e32 v[10:11], s[10:11], v[14:15]
	v_or_b32_e32 v22, 0x1000, v19
	v_or_b32_e32 v20, v9, v7
	v_cvt_f64_f32_e32 v[6:7], v6
	v_med3_i32 v23, v8, 0, 13
	ds_load_2addr_b32 v[8:9], v61 offset0:112 offset1:168
	v_add_nc_u32_e32 v16, 0xfffffc10, v16
	s_wait_alu 0xf1ff
	v_cndmask_b32_e64 v14, v21, v20, s0
	s_mul_u64 s[0:1], s[4:5], 0x24c
	v_lshrrev_b32_e32 v15, v23, v22
	s_wait_alu 0xfffe
	s_lshl_b64 s[6:7], s[0:1], 2
	v_and_b32_e32 v18, 7, v14
	s_wait_alu 0xfffe
	v_add_co_u32 v4, s0, v4, s6
	v_lshlrev_b32_e32 v20, v23, v15
	s_wait_alu 0xf1ff
	v_add_co_ci_u32_e64 v5, s0, s7, v5, s0
	v_cmp_lt_i32_e64 s0, 5, v18
	v_cmp_eq_u32_e64 s1, 3, v18
	v_lshrrev_b32_e32 v14, 2, v14
	v_cmp_ne_u32_e64 s2, v20, v22
	global_store_b32 v[4:5], v12, off
	s_or_b32 s0, s1, s0
	s_wait_dscnt 0x0
	v_lshrrev_b32_e32 v20, 16, v8
	s_wait_alu 0xfffe
	v_add_co_ci_u32_e64 v14, s0, 0, v14, s0
	v_cndmask_b32_e64 v18, 0, 1, s2
	v_cmp_ne_u32_e64 s0, 0, v2
	v_mul_f16_e32 v21, v96, v20
	s_delay_alu instid0(VALU_DEP_3)
	v_or_b32_e32 v15, v15, v18
	v_lshl_or_b32 v18, v16, 12, v19
	s_wait_alu 0xf1ff
	v_cndmask_b32_e64 v2, 0, 1, s0
	v_cmp_gt_i32_e64 s0, 1, v16
	v_fmac_f16_e32 v21, v93, v8
	v_mul_f16_e32 v8, v96, v8
	s_delay_alu instid0(VALU_DEP_4)
	v_lshl_or_b32 v2, v2, 9, 0x7c00
	s_wait_alu 0xf1ff
	v_cndmask_b32_e64 v18, v18, v15, s0
	v_cmp_gt_i32_e64 s0, 31, v17
	v_mul_f64_e32 v[6:7], s[10:11], v[6:7]
	v_cvt_f32_f16_e32 v21, v21
	s_delay_alu instid0(VALU_DEP_4) | instskip(SKIP_3) | instid1(VALU_DEP_3)
	v_and_b32_e32 v15, 7, v18
	s_wait_alu 0xf1ff
	v_cndmask_b32_e64 v14, 0x7c00, v14, s0
	v_cmp_eq_u32_e64 s0, 0x40f, v17
	v_cmp_eq_u32_e64 s1, 3, v15
	s_wait_alu 0xf1ff
	s_delay_alu instid0(VALU_DEP_2)
	v_cndmask_b32_e64 v17, v14, v2, s0
	v_and_or_b32 v2, 0x1ff, v11, v10
	v_cmp_lt_i32_e64 s0, 5, v15
	v_cvt_f64_f32_e32 v[14:15], v21
	v_lshrrev_b32_e32 v10, 2, v18
	v_lshrrev_b32_e32 v18, 8, v11
	v_cmp_ne_u32_e64 s2, 0, v2
	v_bfe_u32 v21, v11, 20, 11
	s_or_b32 s0, s1, s0
	s_wait_alu 0xfffe
	v_add_co_ci_u32_e64 v10, s0, 0, v10, s0
	v_cndmask_b32_e64 v2, 0, 1, s2
	v_cmp_ne_u32_e64 s0, 0, v19
	s_movk_i32 s2, 0xfdec
	s_mov_b32 s3, -1
	s_delay_alu instid0(VALU_DEP_2)
	v_and_or_b32 v18, 0xffe, v18, v2
	v_sub_nc_u32_e32 v2, 0x3f1, v21
	s_wait_alu 0xf1ff
	v_cndmask_b32_e64 v19, 0, 1, s0
	v_cmp_gt_i32_e64 s0, 31, v16
	v_or_b32_e32 v22, 0x1000, v18
	v_med3_i32 v23, v2, 0, 13
	v_fma_f16 v2, v93, v20, -v8
	s_wait_alu 0xf1ff
	v_cndmask_b32_e64 v8, 0x7c00, v10, s0
	v_lshl_or_b32 v10, v19, 9, 0x7c00
	v_cmp_eq_u32_e64 s0, 0x40f, v16
	v_lshrrev_b32_e32 v20, v23, v22
	v_cvt_f32_f16_e32 v2, v2
	v_lshrrev_b32_e32 v19, 16, v3
	v_and_or_b32 v6, 0x1ff, v7, v6
	s_wait_alu 0xf1ff
	v_cndmask_b32_e64 v8, v8, v10, s0
	v_lshrrev_b32_e32 v10, 16, v13
	v_lshlrev_b32_e32 v13, v23, v20
	v_cvt_f64_f32_e32 v[2:3], v2
	v_and_or_b32 v16, 0x8000, v19, v17
	v_add_nc_u32_e32 v19, 0xfffffc10, v21
	v_and_or_b32 v8, 0x8000, v10, v8
	v_cmp_ne_u32_e64 s0, v13, v22
	v_lshrrev_b32_e32 v17, 8, v7
	v_mul_f64_e32 v[12:13], s[10:11], v[14:15]
	v_bfe_u32 v21, v7, 20, 11
	ds_load_2addr_b32 v[14:15], v44 offset0:188 offset1:244
	s_wait_alu 0xf1ff
	v_cndmask_b32_e64 v10, 0, 1, s0
	v_cmp_ne_u32_e64 s0, 0, v6
	v_and_b32_e32 v16, 0xffff, v16
	v_lshrrev_b32_e32 v7, 16, v7
	s_delay_alu instid0(VALU_DEP_4)
	v_or_b32_e32 v10, v20, v10
	s_wait_alu 0xf1ff
	v_cndmask_b32_e64 v6, 0, 1, s0
	v_lshl_or_b32 v20, v19, 12, v18
	v_cmp_gt_i32_e64 s0, 1, v19
	v_lshl_or_b32 v8, v8, 16, v16
	s_delay_alu instid0(VALU_DEP_4)
	v_and_or_b32 v6, 0xffe, v17, v6
	v_sub_nc_u32_e32 v17, 0x3f1, v21
	s_wait_alu 0xf1ff
	v_cndmask_b32_e64 v10, v20, v10, s0
	s_wait_alu 0xfffe
	s_mul_u64 s[0:1], s[4:5], s[2:3]
	v_or_b32_e32 v20, 0x1000, v6
	v_med3_i32 v17, v17, 0, 13
	s_wait_alu 0xfffe
	s_lshl_b64 s[8:9], s[0:1], 2
	v_and_b32_e32 v16, 7, v10
	s_wait_alu 0xfffe
	v_add_co_u32 v4, s0, v4, s8
	v_lshrrev_b32_e32 v22, v17, v20
	s_wait_alu 0xf1ff
	v_add_co_ci_u32_e64 v5, s0, s9, v5, s0
	v_cmp_lt_i32_e64 s0, 5, v16
	v_cmp_eq_u32_e64 s1, 3, v16
	v_lshlrev_b32_e32 v17, v17, v22
	v_lshrrev_b32_e32 v10, 2, v10
	v_mul_f64_e32 v[2:3], s[10:11], v[2:3]
	s_wait_dscnt 0x0
	v_lshrrev_b32_e32 v23, 16, v14
	s_or_b32 s0, s1, s0
	v_cmp_ne_u32_e64 s2, v17, v20
	s_wait_alu 0xfffe
	v_add_co_ci_u32_e64 v10, s0, 0, v10, s0
	v_add_nc_u32_e32 v20, 0xfffffc10, v21
	v_cmp_ne_u32_e64 s0, 0, v18
	s_wait_alu 0xf1ff
	v_cndmask_b32_e64 v16, 0, 1, s2
	v_mul_f16_e32 v17, v92, v23
	v_and_or_b32 v12, 0x1ff, v13, v12
	v_lshl_or_b32 v21, v20, 12, v6
	v_cndmask_b32_e64 v18, 0, 1, s0
	v_or_b32_e32 v16, v22, v16
	v_cmp_gt_i32_e64 s0, 1, v20
	v_fmac_f16_e32 v17, v90, v14
	v_lshrrev_b32_e32 v22, 8, v13
	v_bfe_u32 v26, v13, 20, 11
	v_lshl_or_b32 v18, v18, 9, 0x7c00
	s_wait_alu 0xf1ff
	v_cndmask_b32_e64 v21, v21, v16, s0
	v_cmp_ne_u32_e64 s0, 0, v12
	v_cvt_f32_f16_e32 v16, v17
	v_mul_f16_e32 v14, v92, v14
	global_store_b32 v[4:5], v8, off
	v_and_b32_e32 v27, 7, v21
	s_wait_alu 0xf1ff
	v_cndmask_b32_e64 v12, 0, 1, s0
	v_cmp_gt_i32_e64 s0, 31, v19
	v_cvt_f64_f32_e32 v[16:17], v16
	v_lshrrev_b32_e32 v13, 16, v13
	v_cmp_eq_u32_e64 s1, 3, v27
	v_and_or_b32 v12, 0xffe, v22, v12
	s_wait_alu 0xf1ff
	v_cndmask_b32_e64 v10, 0x7c00, v10, s0
	v_cmp_eq_u32_e64 s0, 0x40f, v19
	v_sub_nc_u32_e32 v22, 0x3f1, v26
	s_wait_alu 0xf1ff
	s_delay_alu instid0(VALU_DEP_2) | instskip(SKIP_1) | instid1(VALU_DEP_3)
	v_cndmask_b32_e64 v18, v10, v18, s0
	v_cmp_lt_i32_e64 s0, 5, v27
	v_med3_i32 v19, v22, 0, 13
	v_lshrrev_b32_e32 v22, 16, v11
	v_lshrrev_b32_e32 v11, 2, v21
	v_or_b32_e32 v10, 0x1000, v12
	s_or_b32 s0, s1, s0
	v_and_or_b32 v2, 0x1ff, v3, v2
	v_bfe_u32 v28, v3, 20, 11
	s_wait_alu 0xfffe
	v_add_co_ci_u32_e64 v27, s0, 0, v11, s0
	v_lshrrev_b32_e32 v21, v19, v10
	v_cmp_ne_u32_e64 s0, 0, v6
	v_and_or_b32 v8, 0x8000, v22, v18
	s_delay_alu instid0(VALU_DEP_3) | instskip(SKIP_1) | instid1(VALU_DEP_3)
	v_lshlrev_b32_e32 v11, v19, v21
	s_wait_alu 0xf1ff
	v_cndmask_b32_e64 v6, 0, 1, s0
	v_cmp_ne_u32_e64 s0, 0, v2
	v_lshrrev_b32_e32 v19, 8, v3
	v_and_b32_e32 v8, 0xffff, v8
	v_lshrrev_b32_e32 v3, 16, v3
	v_lshl_or_b32 v6, v6, 9, 0x7c00
	s_wait_alu 0xf1ff
	v_cndmask_b32_e64 v2, 0, 1, s0
	v_cmp_ne_u32_e64 s0, v11, v10
	v_fma_f16 v11, v90, v23, -v14
	v_add_nc_u32_e32 v14, 0xfffffc10, v26
	s_delay_alu instid0(VALU_DEP_4)
	v_and_or_b32 v2, 0xffe, v19, v2
	s_wait_alu 0xf1ff
	v_cndmask_b32_e64 v10, 0, 1, s0
	v_cvt_f32_f16_e32 v23, v11
	v_cmp_gt_i32_e64 s0, 31, v20
	v_lshl_or_b32 v26, v14, 12, v12
	v_or_b32_e32 v29, 0x1000, v2
	v_or_b32_e32 v19, v21, v10
	v_sub_nc_u32_e32 v21, 0x3f1, v28
	v_mul_f64_e32 v[10:11], s[10:11], v[16:17]
	v_cvt_f64_f32_e32 v[16:17], v23
	s_wait_alu 0xf1ff
	v_cndmask_b32_e64 v23, 0x7c00, v27, s0
	v_cmp_gt_i32_e64 s0, 1, v14
	v_med3_i32 v21, v21, 0, 13
	s_wait_alu 0xf1ff
	s_delay_alu instid0(VALU_DEP_2) | instskip(NEXT) | instid1(VALU_DEP_2)
	v_cndmask_b32_e64 v19, v26, v19, s0
	v_lshrrev_b32_e32 v26, v21, v29
	v_cmp_eq_u32_e64 s0, 0x40f, v20
	s_delay_alu instid0(VALU_DEP_3) | instskip(NEXT) | instid1(VALU_DEP_3)
	v_and_b32_e32 v20, 7, v19
	v_lshlrev_b32_e32 v21, v21, v26
	s_wait_alu 0xf1ff
	s_delay_alu instid0(VALU_DEP_3) | instskip(NEXT) | instid1(VALU_DEP_3)
	v_cndmask_b32_e64 v6, v23, v6, s0
	v_cmp_lt_i32_e64 s0, 5, v20
	s_delay_alu instid0(VALU_DEP_3) | instskip(NEXT) | instid1(VALU_DEP_3)
	v_cmp_ne_u32_e64 s1, v21, v29
	v_and_or_b32 v18, 0x8000, v7, v6
	v_lshrrev_b32_e32 v7, 2, v19
	v_add_nc_u32_e32 v21, 0xfffffc10, v28
	s_wait_alu 0xf1ff
	v_cndmask_b32_e64 v6, 0, 1, s1
	v_cmp_eq_u32_e64 s1, 3, v20
	v_lshrrev_b32_e32 v20, 16, v9
	v_lshl_or_b32 v19, v21, 12, v2
	v_lshl_or_b32 v18, v18, 16, v8
	v_or_b32_e32 v6, v26, v6
	s_or_b32 s0, s1, s0
	s_wait_alu 0xfffe
	v_add_co_ci_u32_e64 v7, s0, 0, v7, s0
	v_cmp_gt_i32_e64 s0, 1, v21
	v_and_or_b32 v10, 0x1ff, v11, v10
	s_wait_alu 0xf1ff
	s_delay_alu instid0(VALU_DEP_2)
	v_cndmask_b32_e64 v19, v19, v6, s0
	v_cmp_ne_u32_e64 s0, 0, v12
	v_mul_f16_e32 v12, v91, v20
	v_lshrrev_b32_e32 v27, 8, v11
	v_cmp_ne_u32_e64 s1, 0, v10
	v_and_b32_e32 v23, 7, v19
	s_wait_alu 0xf1ff
	v_cndmask_b32_e64 v6, 0, 1, s0
	v_cmp_gt_i32_e64 s0, 31, v14
	v_fmac_f16_e32 v12, v88, v9
	v_cndmask_b32_e64 v10, 0, 1, s1
	v_cmp_eq_u32_e64 s1, 3, v23
	v_lshl_or_b32 v26, v6, 9, 0x7c00
	s_wait_alu 0xf1ff
	v_cndmask_b32_e64 v22, 0x7c00, v7, s0
	v_mul_f64_e32 v[6:7], s[10:11], v[16:17]
	v_cmp_lt_i32_e64 s0, 5, v23
	v_cvt_f32_f16_e32 v12, v12
	v_lshrrev_b32_e32 v19, 2, v19
	v_bfe_u32 v28, v11, 20, 11
	v_and_or_b32 v10, 0xffe, v27, v10
	s_or_b32 s0, s1, s0
	v_cvt_f64_f32_e32 v[16:17], v12
	s_wait_alu 0xfffe
	v_add_co_ci_u32_e64 v19, s0, 0, v19, s0
	v_cmp_ne_u32_e64 s0, 0, v2
	v_sub_nc_u32_e32 v12, 0x3f1, v28
	v_or_b32_e32 v23, 0x1000, v10
	v_mul_f16_e32 v9, v91, v9
	s_wait_alu 0xf1ff
	v_cndmask_b32_e64 v2, 0, 1, s0
	v_cmp_gt_i32_e64 s0, 31, v21
	v_med3_i32 v12, v12, 0, 13
	s_delay_alu instid0(VALU_DEP_3) | instskip(SKIP_1) | instid1(VALU_DEP_3)
	v_lshl_or_b32 v2, v2, 9, 0x7c00
	s_wait_alu 0xf1ff
	v_cndmask_b32_e64 v19, 0x7c00, v19, s0
	v_cmp_eq_u32_e64 s0, 0x40f, v14
	s_wait_alu 0xf1ff
	s_delay_alu instid0(VALU_DEP_1) | instskip(SKIP_2) | instid1(VALU_DEP_3)
	v_cndmask_b32_e64 v14, v22, v26, s0
	v_lshrrev_b32_e32 v22, v12, v23
	v_cmp_eq_u32_e64 s0, 0x40f, v21
	v_and_or_b32 v8, 0x8000, v13, v14
	s_delay_alu instid0(VALU_DEP_3) | instskip(SKIP_1) | instid1(VALU_DEP_3)
	v_lshlrev_b32_e32 v12, v12, v22
	s_wait_alu 0xf1ff
	v_cndmask_b32_e64 v2, v19, v2, s0
	v_add_nc_u32_e32 v14, 0xfffffc10, v28
	s_delay_alu instid0(VALU_DEP_3) | instskip(NEXT) | instid1(VALU_DEP_3)
	v_cmp_ne_u32_e64 s0, v12, v23
	v_and_or_b32 v13, 0x8000, v3, v2
	v_fma_f16 v3, v88, v20, -v9
	v_and_or_b32 v6, 0x1ff, v7, v6
	v_and_b32_e32 v12, 0xffff, v8
	s_wait_alu 0xf1ff
	v_cndmask_b32_e64 v2, 0, 1, s0
	v_lshrrev_b32_e32 v21, 8, v7
	v_cvt_f32_f16_e32 v8, v3
	v_cmp_ne_u32_e64 s0, 0, v6
	v_lshl_or_b32 v20, v14, 12, v10
	v_or_b32_e32 v19, v22, v2
	v_mul_f64_e32 v[2:3], s[10:11], v[16:17]
	v_bfe_u32 v22, v7, 20, 11
	s_wait_alu 0xf1ff
	v_cndmask_b32_e64 v6, 0, 1, s0
	v_cvt_f64_f32_e32 v[8:9], v8
	v_cmp_gt_i32_e64 s0, 1, v14
	v_cmp_eq_u32_e64 s2, 0x40f, v14
	v_sub_nc_u32_e32 v17, 0x3f1, v22
	v_and_or_b32 v6, 0xffe, v21, v6
	v_lshrrev_b32_e32 v7, 16, v7
	s_wait_alu 0xf1ff
	v_cndmask_b32_e64 v16, v20, v19, s0
	v_add_co_u32 v4, s0, v4, s6
	s_wait_alu 0xf1ff
	v_add_co_ci_u32_e64 v5, s0, s7, v5, s0
	v_or_b32_e32 v21, 0x1000, v6
	v_med3_i32 v17, v17, 0, 13
	v_and_b32_e32 v20, 7, v16
	v_lshl_or_b32 v19, v13, 16, v12
	v_add_co_u32 v12, s0, v4, s8
	global_store_b32 v[4:5], v18, off
	v_lshrrev_b32_e32 v4, v17, v21
	s_wait_alu 0xf1ff
	v_add_co_ci_u32_e64 v13, s0, s9, v5, s0
	v_cmp_lt_i32_e64 s0, 5, v20
	v_cmp_eq_u32_e64 s1, 3, v20
	v_lshrrev_b32_e32 v5, 2, v16
	v_lshlrev_b32_e32 v17, v17, v4
	v_lshrrev_b32_e32 v16, 16, v15
	global_store_b32 v[12:13], v19, off
	s_or_b32 s0, s1, s0
	s_wait_alu 0xfffe
	v_add_co_ci_u32_e64 v18, s0, 0, v5, s0
	v_cmp_ne_u32_e64 s0, v17, v21
	v_mul_f16_e32 v19, v89, v16
	v_add_nc_u32_e32 v17, 0xfffffc10, v22
	v_and_or_b32 v2, 0x1ff, v3, v2
	s_wait_alu 0xf1ff
	v_cndmask_b32_e64 v5, 0, 1, s0
	v_cmp_ne_u32_e64 s0, 0, v10
	v_fmac_f16_e32 v19, v86, v15
	v_lshl_or_b32 v21, v17, 12, v6
	v_mul_f16_e32 v15, v89, v15
	v_or_b32_e32 v20, v4, v5
	s_wait_alu 0xf1ff
	v_cndmask_b32_e64 v10, 0, 1, s0
	v_cmp_gt_i32_e64 s0, 1, v17
	v_mul_f64_e32 v[4:5], s[10:11], v[8:9]
	v_cvt_f32_f16_e32 v8, v19
	v_fma_f16 v15, v86, v16, -v15
	v_lshl_or_b32 v10, v10, 9, 0x7c00
	s_wait_alu 0xf1ff
	v_cndmask_b32_e64 v19, v21, v20, s0
	v_cmp_ne_u32_e64 s0, 0, v2
	v_cvt_f64_f32_e32 v[8:9], v8
	v_lshrrev_b32_e32 v20, 8, v3
	v_bfe_u32 v21, v3, 20, 11
	v_and_b32_e32 v22, 7, v19
	s_wait_alu 0xf1ff
	v_cndmask_b32_e64 v2, 0, 1, s0
	v_cmp_gt_i32_e64 s0, 31, v14
	s_delay_alu instid0(VALU_DEP_3) | instskip(NEXT) | instid1(VALU_DEP_3)
	v_cmp_eq_u32_e64 s1, 3, v22
	v_and_or_b32 v2, 0xffe, v20, v2
	s_wait_alu 0xf1ff
	s_delay_alu instid0(VALU_DEP_3) | instskip(SKIP_3) | instid1(VALU_DEP_4)
	v_cndmask_b32_e64 v18, 0x7c00, v18, s0
	v_sub_nc_u32_e32 v20, 0x3f1, v21
	v_cmp_lt_i32_e64 s0, 5, v22
	v_or_b32_e32 v22, 0x1000, v2
	v_cndmask_b32_e64 v14, v18, v10, s2
	v_lshrrev_b32_e32 v10, 2, v19
	v_med3_i32 v20, v20, 0, 13
	s_or_b32 s0, s1, s0
	v_lshrrev_b32_e32 v18, 16, v11
	s_wait_alu 0xfffe
	v_add_co_ci_u32_e64 v10, s0, 0, v10, s0
	v_lshrrev_b32_e32 v11, v20, v22
	v_cmp_ne_u32_e64 s0, 0, v6
	v_and_or_b32 v14, 0x8000, v18, v14
	s_delay_alu instid0(VALU_DEP_3) | instskip(SKIP_1) | instid1(VALU_DEP_3)
	v_lshlrev_b32_e32 v19, v20, v11
	s_wait_alu 0xf1ff
	v_cndmask_b32_e64 v6, 0, 1, s0
	v_cmp_gt_i32_e64 s0, 31, v17
	v_add_nc_u32_e32 v20, 0xfffffc10, v21
	v_and_or_b32 v4, 0x1ff, v5, v4
	s_delay_alu instid0(VALU_DEP_4)
	v_lshl_or_b32 v6, v6, 9, 0x7c00
	s_wait_alu 0xf1ff
	v_cndmask_b32_e64 v10, 0x7c00, v10, s0
	v_cmp_ne_u32_e64 s0, v19, v22
	v_mul_f64_e32 v[8:9], s[10:11], v[8:9]
	s_wait_alu 0xf1ff
	s_delay_alu instid0(VALU_DEP_2) | instskip(SKIP_2) | instid1(VALU_DEP_3)
	v_cndmask_b32_e64 v19, 0, 1, s0
	v_cmp_eq_u32_e64 s0, 0x40f, v17
	v_lshrrev_b32_e32 v17, 8, v5
	v_or_b32_e32 v16, v11, v19
	s_wait_alu 0xf1ff
	s_delay_alu instid0(VALU_DEP_3)
	v_cndmask_b32_e64 v6, v10, v6, s0
	v_cmp_ne_u32_e64 s0, 0, v4
	v_cvt_f32_f16_e32 v10, v15
	v_lshl_or_b32 v15, v20, 12, v2
	v_bfe_u32 v19, v5, 20, 11
	v_and_or_b32 v6, 0x8000, v7, v6
	s_wait_alu 0xf1ff
	v_cndmask_b32_e64 v4, 0, 1, s0
	v_cmp_gt_i32_e64 s0, 1, v20
	v_cvt_f64_f32_e32 v[10:11], v10
	v_and_b32_e32 v7, 0xffff, v14
	s_delay_alu instid0(VALU_DEP_4) | instskip(SKIP_3) | instid1(VALU_DEP_3)
	v_and_or_b32 v4, 0xffe, v17, v4
	s_wait_alu 0xf1ff
	v_cndmask_b32_e64 v15, v15, v16, s0
	v_sub_nc_u32_e32 v16, 0x3f1, v19
	v_or_b32_e32 v14, 0x1000, v4
	s_delay_alu instid0(VALU_DEP_3) | instskip(NEXT) | instid1(VALU_DEP_3)
	v_and_b32_e32 v17, 7, v15
	v_med3_i32 v16, v16, 0, 13
	v_lshrrev_b32_e32 v15, 2, v15
	s_delay_alu instid0(VALU_DEP_3) | instskip(SKIP_1) | instid1(VALU_DEP_4)
	v_cmp_lt_i32_e64 s0, 5, v17
	v_cmp_eq_u32_e64 s1, 3, v17
	v_lshrrev_b32_e32 v18, v16, v14
	v_lshl_or_b32 v17, v6, 16, v7
	ds_load_2addr_b32 v[6:7], v43 offset0:96 offset1:152
	s_or_b32 s0, s1, s0
	v_lshlrev_b32_e32 v16, v16, v18
	s_wait_alu 0xfffe
	v_add_co_ci_u32_e64 v15, s0, 0, v15, s0
	v_add_co_u32 v12, s0, v12, s6
	s_wait_alu 0xf1ff
	v_add_co_ci_u32_e64 v13, s0, s7, v13, s0
	v_cmp_gt_i32_e64 s0, 31, v20
	v_and_or_b32 v8, 0x1ff, v9, v8
	v_lshrrev_b32_e32 v21, 8, v9
	v_bfe_u32 v22, v9, 20, 11
	global_store_b32 v[12:13], v17, off
	s_wait_alu 0xf1ff
	v_cndmask_b32_e64 v15, 0x7c00, v15, s0
	v_cmp_ne_u32_e64 s0, v16, v14
	v_add_nc_u32_e32 v16, 0xfffffc10, v19
	v_mul_f64_e32 v[10:11], s[10:11], v[10:11]
	s_wait_alu 0xf1ff
	s_delay_alu instid0(VALU_DEP_3) | instskip(SKIP_3) | instid1(VALU_DEP_3)
	v_cndmask_b32_e64 v14, 0, 1, s0
	v_cmp_ne_u32_e64 s0, 0, v2
	s_wait_dscnt 0x0
	v_lshrrev_b32_e32 v19, 16, v6
	v_or_b32_e32 v14, v18, v14
	s_wait_alu 0xf1ff
	v_cndmask_b32_e64 v2, 0, 1, s0
	v_cmp_ne_u32_e64 s0, 0, v8
	v_lshl_or_b32 v18, v16, 12, v4
	v_mul_f16_e32 v23, v87, v19
	s_delay_alu instid0(VALU_DEP_4)
	v_lshl_or_b32 v2, v2, 9, 0x7c00
	s_wait_alu 0xf1ff
	v_cndmask_b32_e64 v8, 0, 1, s0
	v_cmp_gt_i32_e64 s0, 1, v16
	v_fmac_f16_e32 v23, v84, v6
	v_mul_f16_e32 v6, v87, v6
	s_delay_alu instid0(VALU_DEP_4)
	v_and_or_b32 v8, 0xffe, v21, v8
	s_wait_alu 0xf1ff
	v_cndmask_b32_e64 v14, v18, v14, s0
	v_sub_nc_u32_e32 v18, 0x3f1, v22
	v_cmp_eq_u32_e64 s0, 0x40f, v20
	v_lshrrev_b32_e32 v20, 16, v3
	v_or_b32_e32 v26, 0x1000, v8
	v_and_b32_e32 v21, 7, v14
	v_med3_i32 v18, v18, 0, 13
	s_wait_alu 0xf1ff
	v_cndmask_b32_e64 v15, v15, v2, s0
	v_lshrrev_b32_e32 v14, 2, v14
	v_cvt_f32_f16_e32 v23, v23
	v_cmp_lt_i32_e64 s0, 5, v21
	v_cmp_eq_u32_e64 s1, 3, v21
	v_lshrrev_b32_e32 v27, v18, v26
	v_and_or_b32 v20, 0x8000, v20, v15
	v_cvt_f64_f32_e32 v[2:3], v23
	v_fma_f16 v6, v84, v19, -v6
	s_or_b32 s0, s1, s0
	v_lshlrev_b32_e32 v15, v18, v27
	s_wait_alu 0xfffe
	v_add_co_ci_u32_e64 v14, s0, 0, v14, s0
	v_cmp_ne_u32_e64 s0, 0, v4
	v_and_or_b32 v10, 0x1ff, v11, v10
	v_cvt_f32_f16_e32 v6, v6
	v_lshrrev_b32_e32 v21, 8, v11
	v_and_b32_e32 v20, 0xffff, v20
	s_wait_alu 0xf1ff
	v_cndmask_b32_e64 v4, 0, 1, s0
	v_cmp_ne_u32_e64 s0, v15, v26
	s_delay_alu instid0(VALU_DEP_2) | instskip(SKIP_1) | instid1(VALU_DEP_2)
	v_lshl_or_b32 v4, v4, 9, 0x7c00
	s_wait_alu 0xf1ff
	v_cndmask_b32_e64 v18, 0, 1, s0
	v_cmp_gt_i32_e64 s0, 31, v16
	s_wait_alu 0xf1ff
	s_delay_alu instid0(VALU_DEP_1)
	v_cndmask_b32_e64 v19, 0x7c00, v14, s0
	v_cmp_ne_u32_e64 s0, 0, v10
	v_cvt_f64_f32_e32 v[14:15], v6
	v_or_b32_e32 v6, v27, v18
	v_add_nc_u32_e32 v18, 0xfffffc10, v22
	v_bfe_u32 v22, v11, 20, 11
	s_wait_alu 0xf1ff
	v_cndmask_b32_e64 v10, 0, 1, s0
	v_cmp_eq_u32_e64 s0, 0x40f, v16
	v_lshrrev_b32_e32 v11, 16, v11
	v_lshl_or_b32 v23, v18, 12, v8
	s_delay_alu instid0(VALU_DEP_4)
	v_and_or_b32 v10, 0xffe, v21, v10
	s_wait_alu 0xf1ff
	v_cndmask_b32_e64 v16, v19, v4, s0
	v_cmp_gt_i32_e64 s0, 1, v18
	v_sub_nc_u32_e32 v19, 0x3f1, v22
	v_lshrrev_b32_e32 v21, 16, v5
	ds_load_2addr_b32 v[4:5], v42 offset0:44 offset1:100
	v_mul_f64_e32 v[2:3], s[10:11], v[2:3]
	s_wait_alu 0xf1ff
	v_cndmask_b32_e64 v6, v23, v6, s0
	v_or_b32_e32 v23, 0x1000, v10
	v_med3_i32 v19, v19, 0, 13
	v_and_or_b32 v16, 0x8000, v21, v16
	s_delay_alu instid0(VALU_DEP_4) | instskip(SKIP_1) | instid1(VALU_DEP_4)
	v_and_b32_e32 v26, 7, v6
	v_lshrrev_b32_e32 v6, 2, v6
	v_lshrrev_b32_e32 v21, v19, v23
	s_delay_alu instid0(VALU_DEP_3) | instskip(SKIP_1) | instid1(VALU_DEP_3)
	v_cmp_lt_i32_e64 s0, 5, v26
	v_cmp_eq_u32_e64 s1, 3, v26
	v_lshlrev_b32_e32 v17, v19, v21
	v_lshl_or_b32 v19, v16, 16, v20
	v_add_nc_u32_e32 v20, 0xfffffc10, v22
	s_delay_alu instid0(VALU_DEP_4)
	s_or_b32 s0, s1, s0
	s_wait_alu 0xfffe
	v_add_co_ci_u32_e64 v6, s0, 0, v6, s0
	v_cmp_ne_u32_e64 s0, v17, v23
	s_wait_dscnt 0x0
	v_lshrrev_b32_e32 v17, 16, v4
	v_mul_f64_e32 v[14:15], s[10:11], v[14:15]
	s_wait_alu 0xf1ff
	v_cndmask_b32_e64 v16, 0, 1, s0
	v_cmp_ne_u32_e64 s0, 0, v8
	v_mul_f16_e32 v22, v85, v17
	s_delay_alu instid0(VALU_DEP_3) | instskip(SKIP_1) | instid1(VALU_DEP_3)
	v_or_b32_e32 v16, v21, v16
	s_wait_alu 0xf1ff
	v_cndmask_b32_e64 v8, 0, 1, s0
	v_cmp_gt_i32_e64 s0, 31, v18
	v_lshl_or_b32 v21, v20, 12, v10
	v_fmac_f16_e32 v22, v82, v4
	v_mul_f16_e32 v4, v85, v4
	v_lshl_or_b32 v8, v8, 9, 0x7c00
	s_wait_alu 0xf1ff
	v_cndmask_b32_e64 v6, 0x7c00, v6, s0
	v_cmp_gt_i32_e64 s0, 1, v20
	v_cvt_f32_f16_e32 v22, v22
	v_and_or_b32 v2, 0x1ff, v3, v2
	v_fma_f16 v4, v82, v17, -v4
	s_wait_alu 0xf1ff
	v_cndmask_b32_e64 v16, v21, v16, s0
	v_add_co_u32 v12, s0, v12, s8
	s_wait_alu 0xf1ff
	v_add_co_ci_u32_e64 v13, s0, s9, v13, s0
	v_cmp_eq_u32_e64 s0, 0x40f, v18
	v_lshrrev_b32_e32 v18, 16, v9
	v_and_b32_e32 v21, 7, v16
	v_cmp_ne_u32_e64 s2, 0, v2
	v_lshrrev_b32_e32 v16, 2, v16
	s_wait_alu 0xf1ff
	v_cndmask_b32_e64 v6, v6, v8, s0
	v_cvt_f64_f32_e32 v[8:9], v22
	v_cmp_lt_i32_e64 s0, 5, v21
	v_cmp_eq_u32_e64 s1, 3, v21
	v_cndmask_b32_e64 v2, 0, 1, s2
	v_lshrrev_b32_e32 v21, 8, v3
	v_bfe_u32 v22, v3, 20, 11
	v_and_or_b32 v6, 0x8000, v18, v6
	s_or_b32 s0, s1, s0
	v_and_or_b32 v14, 0x1ff, v15, v14
	s_wait_alu 0xfffe
	v_add_co_ci_u32_e64 v16, s0, 0, v16, s0
	v_and_or_b32 v2, 0xffe, v21, v2
	v_sub_nc_u32_e32 v21, 0x3f1, v22
	v_cmp_gt_i32_e64 s0, 31, v20
	v_cvt_f32_f16_e32 v4, v4
	v_lshrrev_b32_e32 v26, 8, v15
	v_add_nc_u32_e32 v22, 0xfffffc10, v22
	v_med3_i32 v21, v21, 0, 13
	s_wait_alu 0xf1ff
	v_cndmask_b32_e64 v18, 0x7c00, v16, s0
	v_or_b32_e32 v16, 0x1000, v2
	v_cmp_ne_u32_e64 s0, 0, v10
	global_store_b32 v[12:13], v19, off
	v_and_b32_e32 v6, 0xffff, v6
	v_lshrrev_b32_e32 v23, v21, v16
	s_wait_alu 0xf1ff
	v_cndmask_b32_e64 v10, 0, 1, s0
	v_cmp_ne_u32_e64 s0, 0, v14
	s_delay_alu instid0(VALU_DEP_3) | instskip(SKIP_2) | instid1(VALU_DEP_3)
	v_lshlrev_b32_e32 v17, v21, v23
	v_bfe_u32 v21, v15, 20, 11
	s_wait_alu 0xf1ff
	v_cndmask_b32_e64 v14, 0, 1, s0
	v_lshl_or_b32 v10, v10, 9, 0x7c00
	v_lshrrev_b32_e32 v15, 16, v15
	v_cmp_ne_u32_e64 s0, v17, v16
	v_cvt_f64_f32_e32 v[16:17], v4
	v_and_or_b32 v14, 0xffe, v26, v14
	v_sub_nc_u32_e32 v27, 0x3f1, v21
	v_mul_f64_e32 v[8:9], s[10:11], v[8:9]
	s_wait_alu 0xf1ff
	v_cndmask_b32_e64 v26, 0, 1, s0
	v_cmp_eq_u32_e64 s0, 0x40f, v20
	v_or_b32_e32 v4, 0x1000, v14
	v_med3_i32 v27, v27, 0, 13
	s_delay_alu instid0(VALU_DEP_4)
	v_or_b32_e32 v23, v23, v26
	v_lshl_or_b32 v26, v22, 12, v2
	s_wait_alu 0xf1ff
	v_cndmask_b32_e64 v10, v18, v10, s0
	v_lshrrev_b32_e32 v18, v27, v4
	v_cmp_gt_i32_e64 s0, 1, v22
	s_delay_alu instid0(VALU_DEP_3) | instskip(NEXT) | instid1(VALU_DEP_3)
	v_and_or_b32 v10, 0x8000, v11, v10
	v_lshlrev_b32_e32 v19, v27, v18
	s_wait_alu 0xf1ff
	s_delay_alu instid0(VALU_DEP_3) | instskip(SKIP_1) | instid1(VALU_DEP_3)
	v_cndmask_b32_e64 v20, v26, v23, s0
	v_lshrrev_b32_e32 v23, 16, v7
	v_cmp_ne_u32_e64 s0, v19, v4
	v_add_nc_u32_e32 v19, 0xfffffc10, v21
	v_lshl_or_b32 v21, v10, 16, v6
	s_delay_alu instid0(VALU_DEP_4)
	v_mul_f16_e32 v6, v83, v23
	v_and_b32_e32 v11, 7, v20
	s_wait_alu 0xf1ff
	v_cndmask_b32_e64 v4, 0, 1, s0
	v_lshl_or_b32 v10, v19, 12, v14
	v_cmp_gt_i32_e64 s2, 1, v19
	v_fmac_f16_e32 v6, v80, v7
	v_cmp_lt_i32_e64 s0, 5, v11
	v_cmp_eq_u32_e64 s1, 3, v11
	v_lshrrev_b32_e32 v11, 2, v20
	v_or_b32_e32 v4, v18, v4
	v_cvt_f32_f16_e32 v6, v6
	v_mul_f16_e32 v7, v83, v7
	s_or_b32 s0, s1, s0
	s_wait_alu 0xfffe
	v_add_co_ci_u32_e64 v18, s0, 0, v11, s0
	v_cndmask_b32_e64 v4, v10, v4, s2
	v_cmp_ne_u32_e64 s0, 0, v2
	v_mul_f64_e32 v[10:11], s[10:11], v[16:17]
	v_cvt_f64_f32_e32 v[16:17], v6
	v_and_or_b32 v6, 0x1ff, v9, v8
	v_and_b32_e32 v20, 7, v4
	s_wait_alu 0xf1ff
	v_cndmask_b32_e64 v2, 0, 1, s0
	v_cmp_gt_i32_e64 s0, 31, v22
	v_fma_f16 v7, v80, v23, -v7
	v_cmp_ne_u32_e64 s2, 0, v6
	v_cmp_eq_u32_e64 s1, 3, v20
	v_lshl_or_b32 v2, v2, 9, 0x7c00
	s_wait_alu 0xf1ff
	v_cndmask_b32_e64 v8, 0x7c00, v18, s0
	v_cmp_lt_i32_e64 s0, 5, v20
	v_cndmask_b32_e64 v6, 0, 1, s2
	v_cmp_eq_u32_e64 s2, 0x40f, v22
	v_lshrrev_b32_e32 v18, 8, v9
	v_bfe_u32 v20, v9, 20, 11
	s_or_b32 s0, s1, s0
	v_lshrrev_b32_e32 v22, 16, v3
	v_cndmask_b32_e64 v8, v8, v2, s2
	v_lshrrev_b32_e32 v2, 2, v4
	v_and_or_b32 v4, 0xffe, v18, v6
	v_sub_nc_u32_e32 v6, 0x3f1, v20
	s_delay_alu instid0(VALU_DEP_4)
	v_and_or_b32 v8, 0x8000, v22, v8
	s_wait_alu 0xfffe
	v_add_co_ci_u32_e64 v2, s0, 0, v2, s0
	v_cmp_ne_u32_e64 s0, 0, v14
	v_or_b32_e32 v18, 0x1000, v4
	v_med3_i32 v6, v6, 0, 13
	v_and_b32_e32 v8, 0xffff, v8
	s_wait_alu 0xf1ff
	v_cndmask_b32_e64 v14, 0, 1, s0
	v_cmp_gt_i32_e64 s0, 31, v19
	v_lshrrev_b32_e32 v27, v6, v18
	s_delay_alu instid0(VALU_DEP_3) | instskip(SKIP_1) | instid1(VALU_DEP_3)
	v_lshl_or_b32 v14, v14, 9, 0x7c00
	s_wait_alu 0xf1ff
	v_cndmask_b32_e64 v26, 0x7c00, v2, s0
	v_add_co_u32 v2, s0, v12, s6
	s_wait_alu 0xf1ff
	v_add_co_ci_u32_e64 v3, s0, s7, v13, s0
	v_lshlrev_b32_e32 v6, v6, v27
	v_cmp_eq_u32_e64 s0, 0x40f, v19
	v_and_or_b32 v10, 0x1ff, v11, v10
	v_mul_f64_e32 v[12:13], s[10:11], v[16:17]
	v_add_nc_u32_e32 v16, 0xfffffc10, v20
	v_lshrrev_b32_e32 v17, 8, v11
	s_wait_alu 0xf1ff
	v_cndmask_b32_e64 v14, v26, v14, s0
	v_cmp_ne_u32_e64 s0, v6, v18
	v_bfe_u32 v18, v11, 20, 11
	v_lshl_or_b32 v19, v16, 12, v4
	global_store_b32 v[2:3], v21, off
	v_and_or_b32 v14, 0x8000, v15, v14
	s_wait_alu 0xf1ff
	v_cndmask_b32_e64 v6, 0, 1, s0
	v_cmp_ne_u32_e64 s0, 0, v10
	v_add_co_u32 v2, s2, v2, s8
	s_wait_alu 0xf1ff
	v_add_co_ci_u32_e64 v3, s2, s9, v3, s2
	s_delay_alu instid0(VALU_DEP_3) | instskip(SKIP_2) | instid1(VALU_DEP_3)
	v_cndmask_b32_e64 v10, 0, 1, s0
	v_or_b32_e32 v6, v27, v6
	v_cmp_gt_i32_e64 s0, 1, v16
	v_and_or_b32 v10, 0xffe, v17, v10
	v_sub_nc_u32_e32 v17, 0x3f1, v18
	s_wait_alu 0xf1ff
	s_delay_alu instid0(VALU_DEP_3)
	v_cndmask_b32_e64 v19, v19, v6, s0
	v_cvt_f32_f16_e32 v6, v7
	v_add_nc_u32_e32 v18, 0xfffffc10, v18
	v_or_b32_e32 v15, 0x1000, v10
	v_med3_i32 v17, v17, 0, 13
	v_and_b32_e32 v20, 7, v19
	v_cvt_f64_f32_e32 v[6:7], v6
	s_delay_alu instid0(VALU_DEP_3) | instskip(NEXT) | instid1(VALU_DEP_3)
	v_lshrrev_b32_e32 v21, v17, v15
	v_cmp_lt_i32_e64 s0, 5, v20
	v_cmp_eq_u32_e64 s1, 3, v20
	v_lshl_or_b32 v20, v14, 16, v8
	v_lshrrev_b32_e32 v8, 2, v19
	v_lshlrev_b32_e32 v14, v17, v21
	v_lshrrev_b32_e32 v17, 16, v5
	s_or_b32 s0, s1, s0
	v_and_or_b32 v12, 0x1ff, v13, v12
	s_wait_alu 0xfffe
	v_add_co_ci_u32_e64 v8, s0, 0, v8, s0
	v_cmp_ne_u32_e64 s0, v14, v15
	v_mul_f16_e32 v15, v81, v17
	v_lshl_or_b32 v19, v18, 12, v10
	v_bfe_u32 v22, v13, 20, 11
	global_store_b32 v[2:3], v20, off
	s_wait_alu 0xf1ff
	v_cndmask_b32_e64 v14, 0, 1, s0
	v_cmp_ne_u32_e64 s0, 0, v4
	v_fmac_f16_e32 v15, v78, v5
	v_mul_f16_e32 v5, v81, v5
	s_delay_alu instid0(VALU_DEP_4)
	v_or_b32_e32 v14, v21, v14
	s_wait_alu 0xf1ff
	v_cndmask_b32_e64 v4, 0, 1, s0
	v_cmp_ne_u32_e64 s0, 0, v12
	v_cvt_f32_f16_e32 v15, v15
	v_lshrrev_b32_e32 v21, 8, v13
	v_fma_f16 v17, v78, v17, -v5
	v_lshl_or_b32 v4, v4, 9, 0x7c00
	s_wait_alu 0xf1ff
	v_cndmask_b32_e64 v12, 0, 1, s0
	v_cmp_gt_i32_e64 s0, 1, v18
	v_lshrrev_b32_e32 v13, 16, v13
	s_delay_alu instid0(VALU_DEP_3) | instskip(SKIP_1) | instid1(VALU_DEP_3)
	v_and_or_b32 v12, 0xffe, v21, v12
	s_wait_alu 0xf1ff
	v_cndmask_b32_e64 v19, v19, v14, s0
	v_cvt_f64_f32_e32 v[14:15], v15
	v_cmp_gt_i32_e64 s0, 31, v16
	v_sub_nc_u32_e32 v21, 0x3f1, v22
	v_mul_f64_e32 v[6:7], s[10:11], v[6:7]
	v_and_b32_e32 v23, 7, v19
	v_or_b32_e32 v26, 0x1000, v12
	s_wait_alu 0xf1ff
	v_cndmask_b32_e64 v8, 0x7c00, v8, s0
	v_cmp_eq_u32_e64 s0, 0x40f, v16
	v_med3_i32 v21, v21, 0, 13
	v_cmp_eq_u32_e64 s1, 3, v23
	v_lshrrev_b32_e32 v16, 2, v19
	s_wait_alu 0xf1ff
	v_cndmask_b32_e64 v4, v8, v4, s0
	v_cmp_lt_i32_e64 s0, 5, v23
	v_lshrrev_b32_e32 v8, 16, v9
	v_lshrrev_b32_e32 v9, v21, v26
	s_delay_alu instid0(VALU_DEP_3) | instskip(NEXT) | instid1(VALU_DEP_2)
	s_or_b32 s0, s1, s0
	v_and_or_b32 v19, 0x8000, v8, v4
	s_wait_alu 0xfffe
	v_add_co_ci_u32_e64 v8, s0, 0, v16, s0
	v_lshlrev_b32_e32 v4, v21, v9
	v_cmp_ne_u32_e64 s0, 0, v10
	v_add_nc_u32_e32 v16, 0xfffffc10, v22
	s_wait_alu 0xf1ff
	s_delay_alu instid0(VALU_DEP_2) | instskip(SKIP_1) | instid1(VALU_DEP_3)
	v_cndmask_b32_e64 v10, 0, 1, s0
	v_cmp_ne_u32_e64 s0, v4, v26
	v_lshl_or_b32 v21, v16, 12, v12
	s_delay_alu instid0(VALU_DEP_3) | instskip(SKIP_1) | instid1(VALU_DEP_3)
	v_lshl_or_b32 v10, v10, 9, 0x7c00
	s_wait_alu 0xf1ff
	v_cndmask_b32_e64 v4, 0, 1, s0
	v_cmp_gt_i32_e64 s0, 31, v18
	s_delay_alu instid0(VALU_DEP_2) | instskip(SKIP_2) | instid1(VALU_DEP_3)
	v_or_b32_e32 v9, v9, v4
	v_mul_f64_e32 v[4:5], s[10:11], v[14:15]
	s_wait_alu 0xf1ff
	v_cndmask_b32_e64 v8, 0x7c00, v8, s0
	v_cmp_gt_i32_e64 s0, 1, v16
	v_and_or_b32 v6, 0x1ff, v7, v6
	v_bfe_u32 v20, v7, 20, 11
	s_wait_alu 0xf1ff
	s_delay_alu instid0(VALU_DEP_3)
	v_cndmask_b32_e64 v14, v21, v9, s0
	v_cvt_f32_f16_e32 v9, v17
	v_cmp_eq_u32_e64 s0, 0x40f, v18
	v_lshrrev_b32_e32 v17, 16, v11
	v_cmp_ne_u32_e64 s1, 0, v6
	v_and_b32_e32 v18, 7, v14
	v_lshrrev_b32_e32 v14, 2, v14
	s_wait_alu 0xf1ff
	v_cndmask_b32_e64 v15, v8, v10, s0
	v_cvt_f64_f32_e32 v[8:9], v9
	ds_load_2addr_b32 v[10:11], v41 offset0:80 offset1:136
	v_cmp_lt_i32_e64 s0, 5, v18
	v_cndmask_b32_e64 v6, 0, 1, s1
	v_cmp_eq_u32_e64 s1, 3, v18
	v_and_or_b32 v15, 0x8000, v17, v15
	v_and_b32_e32 v17, 0xffff, v19
	v_lshrrev_b32_e32 v19, 8, v7
	v_lshrrev_b32_e32 v7, 16, v7
	s_or_b32 s0, s1, s0
	s_delay_alu instid0(VALU_DEP_3) | instskip(NEXT) | instid1(VALU_DEP_3)
	v_lshl_or_b32 v17, v15, 16, v17
	v_and_or_b32 v6, 0xffe, v19, v6
	v_sub_nc_u32_e32 v15, 0x3f1, v20
	s_wait_alu 0xfffe
	v_add_co_ci_u32_e64 v14, s0, 0, v14, s0
	v_add_co_u32 v2, s0, v2, s6
	s_wait_alu 0xf1ff
	v_add_co_ci_u32_e64 v3, s0, s7, v3, s0
	v_or_b32_e32 v18, 0x1000, v6
	v_med3_i32 v15, v15, 0, 13
	v_cmp_gt_i32_e64 s0, 31, v16
	s_wait_dscnt 0x0
	v_lshrrev_b32_e32 v19, 16, v10
	v_and_or_b32 v4, 0x1ff, v5, v4
	v_lshrrev_b32_e32 v23, 8, v5
	v_lshrrev_b32_e32 v22, v15, v18
	s_wait_alu 0xf1ff
	v_cndmask_b32_e64 v21, 0x7c00, v14, s0
	v_cmp_ne_u32_e64 s0, 0, v12
	v_mul_f16_e32 v14, v79, v19
	v_bfe_u32 v26, v5, 20, 11
	v_lshlrev_b32_e32 v15, v15, v22
	v_add_nc_u32_e32 v20, 0xfffffc10, v20
	s_wait_alu 0xf1ff
	v_cndmask_b32_e64 v12, 0, 1, s0
	v_cmp_ne_u32_e64 s0, 0, v4
	v_fmac_f16_e32 v14, v76, v10
	v_mul_f16_e32 v10, v79, v10
	global_store_b32 v[2:3], v17, off
	v_mul_f64_e32 v[8:9], s[10:11], v[8:9]
	s_wait_alu 0xf1ff
	v_cndmask_b32_e64 v4, 0, 1, s0
	v_cmp_ne_u32_e64 s0, v15, v18
	v_cvt_f32_f16_e32 v14, v14
	v_lshl_or_b32 v12, v12, 9, 0x7c00
	v_fma_f16 v10, v76, v19, -v10
	v_and_or_b32 v4, 0xffe, v23, v4
	s_wait_alu 0xf1ff
	v_cndmask_b32_e64 v18, 0, 1, s0
	v_cvt_f64_f32_e32 v[14:15], v14
	v_sub_nc_u32_e32 v23, 0x3f1, v26
	v_cmp_gt_i32_e64 s0, 1, v20
	v_or_b32_e32 v27, 0x1000, v4
	v_or_b32_e32 v18, v22, v18
	v_lshl_or_b32 v22, v20, 12, v6
	v_med3_i32 v23, v23, 0, 13
	v_cvt_f32_f16_e32 v10, v10
	v_lshrrev_b32_e32 v5, 16, v5
	s_wait_alu 0xf1ff
	v_cndmask_b32_e64 v18, v22, v18, s0
	v_cmp_eq_u32_e64 s0, 0x40f, v16
	v_lshrrev_b32_e32 v16, v23, v27
	s_wait_alu 0xf1ff
	s_delay_alu instid0(VALU_DEP_2) | instskip(SKIP_1) | instid1(VALU_DEP_2)
	v_cndmask_b32_e64 v12, v21, v12, s0
	v_and_b32_e32 v21, 7, v18
	v_and_or_b32 v22, 0x8000, v13, v12
	v_lshlrev_b32_e32 v12, v23, v16
	s_delay_alu instid0(VALU_DEP_3)
	v_cmp_lt_i32_e64 s0, 5, v21
	v_cmp_eq_u32_e64 s1, 3, v21
	v_lshrrev_b32_e32 v13, 2, v18
	v_add_nc_u32_e32 v18, 0xfffffc10, v26
	v_cmp_ne_u32_e64 s2, v12, v27
	v_and_b32_e32 v22, 0xffff, v22
	s_or_b32 s0, s1, s0
	v_and_or_b32 v8, 0x1ff, v9, v8
	s_wait_alu 0xfffe
	v_add_co_ci_u32_e64 v19, s0, 0, v13, s0
	v_cndmask_b32_e64 v17, 0, 1, s2
	v_cmp_ne_u32_e64 s0, 0, v6
	v_cvt_f64_f32_e32 v[12:13], v10
	v_lshrrev_b32_e32 v21, 8, v9
	v_bfe_u32 v23, v9, 20, 11
	v_or_b32_e32 v10, v16, v17
	v_lshl_or_b32 v16, v18, 12, v4
	s_wait_alu 0xf1ff
	v_cndmask_b32_e64 v6, 0, 1, s0
	v_cmp_gt_i32_e64 s0, 1, v18
	v_mul_f64_e32 v[14:15], s[10:11], v[14:15]
	v_cmp_eq_u32_e64 s2, 0x40f, v20
	v_lshrrev_b32_e32 v9, 16, v9
	v_lshl_or_b32 v6, v6, 9, 0x7c00
	s_wait_alu 0xf1ff
	v_cndmask_b32_e64 v10, v16, v10, s0
	v_cmp_ne_u32_e64 s0, 0, v8
	ds_load_2addr_b32 v[16:17], v42 offset0:156 offset1:212
	v_and_b32_e32 v26, 7, v10
	s_wait_alu 0xf1ff
	v_cndmask_b32_e64 v8, 0, 1, s0
	v_cmp_gt_i32_e64 s0, 31, v20
	v_lshrrev_b32_e32 v10, 2, v10
	v_cmp_eq_u32_e64 s1, 3, v26
	s_delay_alu instid0(VALU_DEP_4)
	v_and_or_b32 v8, 0xffe, v21, v8
	v_sub_nc_u32_e32 v21, 0x3f1, v23
	s_wait_alu 0xf1ff
	v_cndmask_b32_e64 v19, 0x7c00, v19, s0
	v_cmp_lt_i32_e64 s0, 5, v26
	v_or_b32_e32 v26, 0x1000, v8
	v_med3_i32 v21, v21, 0, 13
	s_delay_alu instid0(VALU_DEP_4) | instskip(NEXT) | instid1(VALU_DEP_4)
	v_cndmask_b32_e64 v6, v19, v6, s2
	s_or_b32 s0, s1, s0
	s_wait_alu 0xfffe
	v_add_co_ci_u32_e64 v10, s0, 0, v10, s0
	v_lshrrev_b32_e32 v19, v21, v26
	v_cmp_gt_i32_e64 s0, 31, v18
	s_wait_dscnt 0x0
	v_lshrrev_b32_e32 v20, 16, v16
	v_and_or_b32 v27, 0x8000, v7, v6
	v_mul_f64_e32 v[6:7], s[10:11], v[12:13]
	v_lshlrev_b32_e32 v21, v21, v19
	s_wait_alu 0xf1ff
	v_cndmask_b32_e64 v10, 0x7c00, v10, s0
	v_mul_f16_e32 v28, v77, v20
	s_delay_alu instid0(VALU_DEP_3) | instskip(SKIP_1) | instid1(VALU_DEP_3)
	v_cmp_ne_u32_e64 s0, v21, v26
	v_add_nc_u32_e32 v21, 0xfffffc10, v23
	v_fmac_f16_e32 v28, v75, v16
	v_and_or_b32 v14, 0x1ff, v15, v14
	v_bfe_u32 v26, v15, 20, 11
	s_wait_alu 0xf1ff
	v_cndmask_b32_e64 v12, 0, 1, s0
	v_cmp_ne_u32_e64 s0, 0, v4
	v_lshl_or_b32 v13, v21, 12, v8
	s_delay_alu instid0(VALU_DEP_3) | instskip(SKIP_1) | instid1(VALU_DEP_3)
	v_or_b32_e32 v12, v19, v12
	s_wait_alu 0xf1ff
	v_cndmask_b32_e64 v4, 0, 1, s0
	v_cmp_gt_i32_e64 s0, 1, v21
	v_cvt_f32_f16_e32 v19, v28
	s_delay_alu instid0(VALU_DEP_3) | instskip(SKIP_1) | instid1(VALU_DEP_3)
	v_lshl_or_b32 v4, v4, 9, 0x7c00
	s_wait_alu 0xf1ff
	v_cndmask_b32_e64 v23, v13, v12, s0
	v_cmp_ne_u32_e64 s0, 0, v14
	v_cvt_f64_f32_e32 v[12:13], v19
	v_lshrrev_b32_e32 v19, 8, v15
	v_lshrrev_b32_e32 v15, 16, v15
	v_and_b32_e32 v28, 7, v23
	s_wait_alu 0xf1ff
	v_cndmask_b32_e64 v14, 0, 1, s0
	v_cmp_eq_u32_e64 s0, 0x40f, v18
	v_lshrrev_b32_e32 v18, 2, v23
	v_cmp_eq_u32_e64 s1, 3, v28
	s_wait_alu 0xf1ff
	s_delay_alu instid0(VALU_DEP_3)
	v_cndmask_b32_e64 v4, v10, v4, s0
	v_and_or_b32 v10, 0xffe, v19, v14
	v_sub_nc_u32_e32 v14, 0x3f1, v26
	v_cmp_lt_i32_e64 s0, 5, v28
	v_add_nc_u32_e32 v26, 0xfffffc10, v26
	v_and_or_b32 v28, 0x8000, v5, v4
	v_or_b32_e32 v19, 0x1000, v10
	v_med3_i32 v14, v14, 0, 13
	s_or_b32 s0, s1, s0
	v_and_or_b32 v5, 0x1ff, v7, v6
	s_wait_alu 0xfffe
	v_add_co_ci_u32_e64 v18, s0, 0, v18, s0
	v_lshrrev_b32_e32 v23, v14, v19
	v_cmp_gt_i32_e64 s0, 31, v21
	v_mul_f16_e32 v6, v77, v16
	v_lshrrev_b32_e32 v16, 8, v7
	v_cmp_eq_u32_e64 s2, 0x40f, v26
	v_lshlrev_b32_e32 v4, v14, v23
	s_wait_alu 0xf1ff
	v_cndmask_b32_e64 v18, 0x7c00, v18, s0
	v_cmp_ne_u32_e64 s0, 0, v8
	s_wait_alu 0xf1ff
	s_delay_alu instid0(VALU_DEP_1) | instskip(SKIP_3) | instid1(VALU_DEP_4)
	v_cndmask_b32_e64 v8, 0, 1, s0
	v_cmp_ne_u32_e64 s0, v4, v19
	v_fma_f16 v4, v75, v20, -v6
	v_bfe_u32 v19, v7, 20, 11
	v_lshl_or_b32 v8, v8, 9, 0x7c00
	s_wait_alu 0xf1ff
	v_cndmask_b32_e64 v14, 0, 1, s0
	v_cmp_ne_u32_e64 s0, 0, v5
	v_cvt_f32_f16_e32 v20, v4
	v_mul_f64_e32 v[4:5], s[10:11], v[12:13]
	s_delay_alu instid0(VALU_DEP_4)
	v_or_b32_e32 v14, v23, v14
	s_wait_alu 0xf1ff
	v_cndmask_b32_e64 v6, 0, 1, s0
	v_cvt_f64_f32_e32 v[12:13], v20
	v_cmp_eq_u32_e64 s0, 0x40f, v21
	v_lshl_or_b32 v20, v26, 12, v10
	s_delay_alu instid0(VALU_DEP_4)
	v_and_or_b32 v6, 0xffe, v16, v6
	v_sub_nc_u32_e32 v16, 0x3f1, v19
	s_wait_alu 0xf1ff
	v_cndmask_b32_e64 v8, v18, v8, s0
	v_cmp_gt_i32_e64 s0, 1, v26
	v_or_b32_e32 v23, 0x1000, v6
	v_med3_i32 v16, v16, 0, 13
	s_delay_alu instid0(VALU_DEP_4)
	v_and_or_b32 v8, 0x8000, v9, v8
	s_wait_alu 0xf1ff
	v_cndmask_b32_e64 v14, v20, v14, s0
	v_add_co_u32 v2, s0, v2, s8
	v_lshrrev_b32_e32 v18, v16, v23
	s_wait_alu 0xf1ff
	v_add_co_ci_u32_e64 v3, s0, s9, v3, s0
	v_and_b32_e32 v9, 0xffff, v28
	v_and_b32_e32 v21, 7, v14
	v_lshlrev_b32_e32 v16, v16, v18
	v_lshl_or_b32 v20, v27, 16, v22
	s_delay_alu instid0(VALU_DEP_4) | instskip(NEXT) | instid1(VALU_DEP_4)
	v_lshl_or_b32 v22, v8, 16, v9
	v_cmp_eq_u32_e64 s1, 3, v21
	s_delay_alu instid0(VALU_DEP_4)
	v_cmp_ne_u32_e64 s0, v16, v23
	v_lshrrev_b32_e32 v9, 2, v14
	v_add_nc_u32_e32 v16, 0xfffffc10, v19
	v_lshrrev_b32_e32 v14, 16, v11
	s_wait_alu 0xf1ff
	v_cndmask_b32_e64 v8, 0, 1, s0
	v_cmp_lt_i32_e64 s0, 5, v21
	s_delay_alu instid0(VALU_DEP_3) | instskip(SKIP_1) | instid1(VALU_DEP_4)
	v_mul_f16_e32 v21, v74, v14
	v_and_or_b32 v4, 0x1ff, v5, v4
	v_or_b32_e32 v8, v18, v8
	s_delay_alu instid0(VALU_DEP_4)
	s_or_b32 s0, s1, s0
	v_lshl_or_b32 v18, v16, 12, v6
	s_wait_alu 0xfffe
	v_add_co_ci_u32_e64 v19, s0, 0, v9, s0
	v_cmp_gt_i32_e64 s0, 1, v16
	v_fmac_f16_e32 v21, v72, v11
	v_bfe_u32 v23, v5, 20, 11
	s_wait_alu 0xf1ff
	s_delay_alu instid0(VALU_DEP_3)
	v_cndmask_b32_e64 v18, v18, v8, s0
	v_cmp_ne_u32_e64 s0, 0, v4
	v_mul_f64_e32 v[8:9], s[10:11], v[12:13]
	v_lshrrev_b32_e32 v12, 8, v5
	v_cvt_f32_f16_e32 v13, v21
	v_and_b32_e32 v21, 7, v18
	s_wait_alu 0xf1ff
	v_cndmask_b32_e64 v4, 0, 1, s0
	v_cmp_ne_u32_e64 s0, 0, v10
	v_sub_nc_u32_e32 v27, 0x3f1, v23
	v_lshrrev_b32_e32 v18, 2, v18
	v_cmp_eq_u32_e64 s1, 3, v21
	v_and_or_b32 v4, 0xffe, v12, v4
	s_wait_alu 0xf1ff
	v_cndmask_b32_e64 v10, 0, 1, s0
	v_cmp_gt_i32_e64 s0, 31, v26
	v_cvt_f64_f32_e32 v[12:13], v13
	v_med3_i32 v27, v27, 0, 13
	v_or_b32_e32 v28, 0x1000, v4
	v_lshl_or_b32 v10, v10, 9, 0x7c00
	s_wait_alu 0xf1ff
	v_cndmask_b32_e64 v19, 0x7c00, v19, s0
	v_cmp_lt_i32_e64 s0, 5, v21
	s_delay_alu instid0(VALU_DEP_2) | instskip(NEXT) | instid1(VALU_DEP_2)
	v_cndmask_b32_e64 v10, v19, v10, s2
	s_or_b32 s0, s1, s0
	v_lshrrev_b32_e32 v19, v27, v28
	s_wait_alu 0xfffe
	v_add_co_ci_u32_e64 v18, s0, 0, v18, s0
	v_cmp_ne_u32_e64 s0, 0, v6
	v_and_or_b32 v15, 0x8000, v15, v10
	v_lshlrev_b32_e32 v21, v27, v19
	s_wait_alu 0xf1ff
	s_delay_alu instid0(VALU_DEP_3) | instskip(SKIP_2) | instid1(VALU_DEP_3)
	v_cndmask_b32_e64 v6, 0, 1, s0
	v_cmp_gt_i32_e64 s0, 31, v16
	v_and_b32_e32 v15, 0xffff, v15
	v_lshl_or_b32 v6, v6, 9, 0x7c00
	s_wait_alu 0xf1ff
	s_delay_alu instid0(VALU_DEP_3) | instskip(SKIP_4) | instid1(VALU_DEP_3)
	v_cndmask_b32_e64 v18, 0x7c00, v18, s0
	v_cmp_ne_u32_e64 s0, v21, v28
	v_and_or_b32 v8, 0x1ff, v9, v8
	v_add_nc_u32_e32 v21, 0xfffffc10, v23
	s_wait_alu 0xf1ff
	v_cndmask_b32_e64 v10, 0, 1, s0
	v_cmp_eq_u32_e64 s0, 0x40f, v16
	s_delay_alu instid0(VALU_DEP_3) | instskip(NEXT) | instid1(VALU_DEP_3)
	v_lshl_or_b32 v23, v21, 12, v4
	v_or_b32_e32 v19, v19, v10
	s_wait_alu 0xf1ff
	s_delay_alu instid0(VALU_DEP_3) | instskip(SKIP_4) | instid1(VALU_DEP_4)
	v_cndmask_b32_e64 v16, v18, v6, s0
	v_mul_f16_e32 v6, v74, v11
	v_cmp_ne_u32_e64 s0, 0, v8
	v_lshrrev_b32_e32 v10, 8, v9
	v_lshrrev_b32_e32 v18, 16, v7
	v_fma_f16 v6, v72, v14, -v6
	s_wait_alu 0xf1ff
	v_cndmask_b32_e64 v8, 0, 1, s0
	v_bfe_u32 v14, v9, 20, 11
	v_cmp_gt_i32_e64 s0, 1, v21
	v_and_or_b32 v16, 0x8000, v18, v16
	v_cvt_f32_f16_e32 v11, v6
	v_mul_f64_e32 v[6:7], s[10:11], v[12:13]
	v_and_or_b32 v8, 0xffe, v10, v8
	v_sub_nc_u32_e32 v12, 0x3f1, v14
	s_wait_alu 0xf1ff
	v_cndmask_b32_e64 v19, v23, v19, s0
	v_cvt_f64_f32_e32 v[10:11], v11
	v_add_nc_u32_e32 v14, 0xfffffc10, v14
	v_or_b32_e32 v23, 0x1000, v8
	v_med3_i32 v26, v12, 0, 13
	v_and_b32_e32 v27, 7, v19
	v_add_co_u32 v12, s0, v2, s6
	s_wait_alu 0xf1ff
	v_add_co_ci_u32_e64 v13, s0, s7, v3, s0
	v_lshrrev_b32_e32 v18, v26, v23
	v_cmp_lt_i32_e64 s0, 5, v27
	v_cmp_eq_u32_e64 s1, 3, v27
	global_store_b32 v[2:3], v20, off
	global_store_b32 v[12:13], v22, off
	v_lshrrev_b32_e32 v3, 2, v19
	v_lshlrev_b32_e32 v2, v26, v18
	v_lshl_or_b32 v15, v16, 16, v15
	s_or_b32 s0, s1, s0
	v_lshl_or_b32 v16, v14, 12, v8
	s_wait_alu 0xfffe
	v_add_co_ci_u32_e64 v3, s0, 0, v3, s0
	v_cmp_ne_u32_e64 s2, v2, v23
	v_cmp_ne_u32_e64 s0, 0, v4
	v_lshrrev_b32_e32 v19, 16, v17
	s_wait_alu 0xf1ff
	s_delay_alu instid0(VALU_DEP_3) | instskip(NEXT) | instid1(VALU_DEP_3)
	v_cndmask_b32_e64 v2, 0, 1, s2
	v_cndmask_b32_e64 v4, 0, 1, s0
	v_cmp_gt_i32_e64 s0, 31, v21
	s_delay_alu instid0(VALU_DEP_3) | instskip(NEXT) | instid1(VALU_DEP_3)
	v_or_b32_e32 v2, v18, v2
	v_lshl_or_b32 v4, v4, 9, 0x7c00
	s_wait_alu 0xf1ff
	s_delay_alu instid0(VALU_DEP_3) | instskip(SKIP_4) | instid1(VALU_DEP_3)
	v_cndmask_b32_e64 v3, 0x7c00, v3, s0
	v_cmp_gt_i32_e64 s0, 1, v14
	v_and_or_b32 v6, 0x1ff, v7, v6
	v_bfe_u32 v20, v7, 20, 11
	s_wait_alu 0xf1ff
	v_cndmask_b32_e64 v16, v16, v2, s0
	v_cmp_eq_u32_e64 s0, 0x40f, v21
	v_lshrrev_b32_e32 v21, 16, v5
	v_sub_nc_u32_e32 v5, 0x3f1, v20
	s_wait_alu 0xf1ff
	s_delay_alu instid0(VALU_DEP_3)
	v_cndmask_b32_e64 v18, v3, v4, s0
	v_cmp_ne_u32_e64 s0, 0, v6
	v_mul_f64_e32 v[2:3], s[10:11], v[10:11]
	v_mul_f16_e32 v11, v73, v19
	v_and_b32_e32 v4, 7, v16
	v_lshrrev_b32_e32 v10, 8, v7
	s_wait_alu 0xf1ff
	v_cndmask_b32_e64 v6, 0, 1, s0
	v_med3_i32 v22, v5, 0, 13
	v_fmac_f16_e32 v11, v71, v17
	v_cmp_lt_i32_e64 s0, 5, v4
	v_cmp_eq_u32_e64 s1, 3, v4
	v_and_or_b32 v6, 0xffe, v10, v6
	v_lshrrev_b32_e32 v4, 2, v16
	v_cvt_f32_f16_e32 v10, v11
	v_and_or_b32 v18, 0x8000, v21, v18
	s_or_b32 s0, s1, s0
	v_or_b32_e32 v16, 0x1000, v6
	s_wait_alu 0xfffe
	v_add_co_ci_u32_e64 v23, s0, 0, v4, s0
	v_cvt_f64_f32_e32 v[4:5], v10
	v_add_co_u32 v10, s0, v12, s8
	s_wait_alu 0xf1ff
	v_add_co_ci_u32_e64 v11, s0, s9, v13, s0
	v_lshrrev_b32_e32 v26, v22, v16
	v_cmp_gt_i32_e64 s0, 31, v14
	v_mul_f16_e32 v13, v73, v17
	global_store_b32 v[10:11], v15, off
	v_and_b32_e32 v18, 0xffff, v18
	v_lshlrev_b32_e32 v12, v22, v26
	s_wait_alu 0xf1ff
	v_cndmask_b32_e64 v21, 0x7c00, v23, s0
	v_cmp_ne_u32_e64 s0, 0, v8
	v_fma_f16 v13, v71, v19, -v13
	s_wait_alu 0xf1ff
	s_delay_alu instid0(VALU_DEP_2)
	v_cndmask_b32_e64 v8, 0, 1, s0
	v_cmp_ne_u32_e64 s0, v12, v16
	v_add_nc_u32_e32 v16, 0xfffffc10, v20
	v_and_or_b32 v2, 0x1ff, v3, v2
	v_lshrrev_b32_e32 v20, 8, v3
	s_wait_alu 0xf1ff
	v_cndmask_b32_e64 v12, 0, 1, s0
	v_lshl_or_b32 v19, v16, 12, v6
	v_bfe_u32 v22, v3, 20, 11
	v_cmp_ne_u32_e64 s0, 0, v2
	v_lshl_or_b32 v8, v8, 9, 0x7c00
	v_or_b32_e32 v17, v26, v12
	v_cvt_f32_f16_e32 v12, v13
	v_lshrrev_b32_e32 v3, 16, v3
	s_wait_alu 0xf1ff
	v_cndmask_b32_e64 v2, 0, 1, s0
	v_cmp_gt_i32_e64 s0, 1, v16
	v_cvt_f64_f32_e32 v[12:13], v12
	s_delay_alu instid0(VALU_DEP_3) | instskip(SKIP_1) | instid1(VALU_DEP_3)
	v_and_or_b32 v2, 0xffe, v20, v2
	s_wait_alu 0xf1ff
	v_cndmask_b32_e64 v17, v19, v17, s0
	v_cmp_eq_u32_e64 s0, 0x40f, v14
	v_sub_nc_u32_e32 v19, 0x3f1, v22
	v_mul_f64_e32 v[4:5], s[10:11], v[4:5]
	v_lshrrev_b32_e32 v20, 16, v9
	v_or_b32_e32 v23, 0x1000, v2
	s_wait_alu 0xf1ff
	v_cndmask_b32_e64 v14, v21, v8, s0
	v_and_b32_e32 v21, 7, v17
	ds_load_2addr_b32 v[8:9], v41 offset0:192 offset1:248
	v_med3_i32 v19, v19, 0, 13
	v_lshrrev_b32_e32 v15, 2, v17
	v_and_or_b32 v14, 0x8000, v20, v14
	v_cmp_lt_i32_e64 s0, 5, v21
	v_cmp_eq_u32_e64 s1, 3, v21
	v_lshrrev_b32_e32 v20, v19, v23
	s_delay_alu instid0(VALU_DEP_4) | instskip(SKIP_1) | instid1(VALU_DEP_4)
	v_lshl_or_b32 v17, v14, 16, v18
	v_add_nc_u32_e32 v18, 0xfffffc10, v22
	s_or_b32 s0, s1, s0
	s_delay_alu instid0(VALU_DEP_3) | instskip(SKIP_4) | instid1(VALU_DEP_1)
	v_lshlrev_b32_e32 v14, v19, v20
	s_wait_alu 0xfffe
	v_add_co_ci_u32_e64 v15, s0, 0, v15, s0
	v_cmp_ne_u32_e64 s0, 0, v6
	s_wait_alu 0xf1ff
	v_cndmask_b32_e64 v6, 0, 1, s0
	v_cmp_ne_u32_e64 s0, v14, v23
	s_wait_dscnt 0x0
	v_lshrrev_b32_e32 v19, 16, v8
	s_delay_alu instid0(VALU_DEP_3)
	v_lshl_or_b32 v6, v6, 9, 0x7c00
	s_wait_alu 0xf1ff
	v_cndmask_b32_e64 v14, 0, 1, s0
	v_cmp_gt_i32_e64 s0, 31, v16
	v_mul_f64_e32 v[12:13], s[10:11], v[12:13]
	v_mul_f16_e32 v21, v70, v19
	s_delay_alu instid0(VALU_DEP_4)
	v_or_b32_e32 v14, v20, v14
	s_wait_alu 0xf1ff
	v_cndmask_b32_e64 v15, 0x7c00, v15, s0
	v_lshl_or_b32 v20, v18, 12, v2
	v_cmp_gt_i32_e64 s0, 1, v18
	v_fmac_f16_e32 v21, v69, v8
	v_and_or_b32 v4, 0x1ff, v5, v4
	v_mul_f16_e32 v8, v70, v8
	s_wait_alu 0xf1ff
	v_cndmask_b32_e64 v14, v20, v14, s0
	v_cmp_eq_u32_e64 s0, 0x40f, v16
	v_cvt_f32_f16_e32 v21, v21
	v_lshrrev_b32_e32 v16, 16, v7
	v_cmp_ne_u32_e64 s2, 0, v4
	v_and_b32_e32 v20, 7, v14
	s_wait_alu 0xf1ff
	v_cndmask_b32_e64 v15, v15, v6, s0
	v_add_co_u32 v6, s0, v10, s6
	s_wait_alu 0xf1ff
	v_add_co_ci_u32_e64 v7, s0, s7, v11, s0
	v_cvt_f64_f32_e32 v[10:11], v21
	v_cmp_lt_i32_e64 s0, 5, v20
	v_cmp_eq_u32_e64 s1, 3, v20
	v_lshrrev_b32_e32 v14, 2, v14
	v_and_or_b32 v16, 0x8000, v16, v15
	v_cndmask_b32_e64 v4, 0, 1, s2
	v_lshrrev_b32_e32 v15, 8, v5
	v_bfe_u32 v20, v5, 20, 11
	s_or_b32 s0, s1, s0
	v_fma_f16 v8, v69, v19, -v8
	s_wait_alu 0xfffe
	v_add_co_ci_u32_e64 v14, s0, 0, v14, s0
	v_and_or_b32 v4, 0xffe, v15, v4
	v_sub_nc_u32_e32 v15, 0x3f1, v20
	v_cmp_ne_u32_e64 s0, 0, v2
	v_cvt_f32_f16_e32 v8, v8
	v_and_or_b32 v12, 0x1ff, v13, v12
	v_or_b32_e32 v21, 0x1000, v4
	v_med3_i32 v19, v15, 0, 13
	s_wait_alu 0xf1ff
	v_cndmask_b32_e64 v2, 0, 1, s0
	v_cmp_gt_i32_e64 s0, 31, v18
	v_add_nc_u32_e32 v20, 0xfffffc10, v20
	global_store_b32 v[6:7], v17, off
	v_lshrrev_b32_e32 v22, v19, v21
	v_lshl_or_b32 v2, v2, 9, 0x7c00
	s_wait_alu 0xf1ff
	v_cndmask_b32_e64 v14, 0x7c00, v14, s0
	v_cmp_eq_u32_e64 s0, 0x40f, v18
	v_lshrrev_b32_e32 v18, 8, v13
	s_wait_alu 0xf1ff
	s_delay_alu instid0(VALU_DEP_2)
	v_cndmask_b32_e64 v2, v14, v2, s0
	v_cvt_f64_f32_e32 v[14:15], v8
	v_lshlrev_b32_e32 v8, v19, v22
	v_cmp_ne_u32_e64 s0, 0, v12
	v_bfe_u32 v19, v13, 20, 11
	v_and_or_b32 v2, 0x8000, v3, v2
	v_and_b32_e32 v3, 0xffff, v16
	v_mul_f64_e32 v[10:11], s[10:11], v[10:11]
	s_wait_alu 0xf1ff
	v_cndmask_b32_e64 v12, 0, 1, s0
	v_cmp_ne_u32_e64 s0, v8, v21
	v_lshl_or_b32 v21, v20, 12, v4
	v_lshl_or_b32 v23, v2, 16, v3
	s_delay_alu instid0(VALU_DEP_4)
	v_and_or_b32 v12, 0xffe, v18, v12
	s_wait_alu 0xf1ff
	v_cndmask_b32_e64 v8, 0, 1, s0
	v_sub_nc_u32_e32 v18, 0x3f1, v19
	v_cmp_gt_i32_e64 s0, 1, v20
	v_add_nc_u32_e32 v19, 0xfffffc10, v19
	s_delay_alu instid0(VALU_DEP_4) | instskip(SKIP_3) | instid1(VALU_DEP_3)
	v_or_b32_e32 v8, v22, v8
	v_or_b32_e32 v22, 0x1000, v12
	v_med3_i32 v18, v18, 0, 13
	s_wait_alu 0xf1ff
	v_cndmask_b32_e64 v8, v21, v8, s0
	v_add_nc_u32_e32 v21, 0x1000, v61
	s_delay_alu instid0(VALU_DEP_3) | instskip(SKIP_1) | instid1(VALU_DEP_4)
	v_lshrrev_b32_e32 v16, v18, v22
	v_add_co_u32 v6, s0, v6, s8
	v_and_b32_e32 v17, 7, v8
	s_wait_alu 0xf1ff
	v_add_co_ci_u32_e64 v7, s0, s9, v7, s0
	v_lshlrev_b32_e32 v18, v18, v16
	ds_load_2addr_b32 v[2:3], v21 offset0:12 offset1:68
	v_cmp_lt_i32_e64 s0, 5, v17
	v_lshrrev_b32_e32 v8, 2, v8
	global_store_b32 v[6:7], v23, off
	v_cmp_ne_u32_e64 s1, v18, v22
	v_mul_f64_e32 v[14:15], s[10:11], v[14:15]
	s_wait_alu 0xf1ff
	s_delay_alu instid0(VALU_DEP_2)
	v_cndmask_b32_e64 v18, 0, 1, s1
	v_cmp_eq_u32_e64 s1, 3, v17
	v_lshl_or_b32 v17, v19, 12, v12
	v_and_or_b32 v10, 0x1ff, v11, v10
	v_lshrrev_b32_e32 v22, 8, v11
	v_or_b32_e32 v16, v16, v18
	s_or_b32 s0, s1, s0
	v_bfe_u32 v26, v11, 20, 11
	s_wait_alu 0xfffe
	v_add_co_ci_u32_e64 v8, s0, 0, v8, s0
	v_cmp_ne_u32_e64 s0, 0, v4
	s_wait_dscnt 0x0
	v_lshrrev_b32_e32 v18, 16, v2
	s_wait_alu 0xf1ff
	s_delay_alu instid0(VALU_DEP_2) | instskip(SKIP_1) | instid1(VALU_DEP_3)
	v_cndmask_b32_e64 v4, 0, 1, s0
	v_cmp_gt_i32_e64 s0, 1, v19
	v_mul_f16_e32 v21, v68, v18
	s_delay_alu instid0(VALU_DEP_3) | instskip(SKIP_1) | instid1(VALU_DEP_3)
	v_lshl_or_b32 v4, v4, 9, 0x7c00
	s_wait_alu 0xf1ff
	v_cndmask_b32_e64 v16, v17, v16, s0
	v_cmp_gt_i32_e64 s0, 31, v20
	v_fmac_f16_e32 v21, v67, v2
	v_mul_f16_e32 v2, v68, v2
	s_delay_alu instid0(VALU_DEP_4)
	v_and_b32_e32 v17, 7, v16
	s_wait_alu 0xf1ff
	v_cndmask_b32_e64 v8, 0x7c00, v8, s0
	v_cmp_ne_u32_e64 s0, 0, v10
	v_fma_f16 v2, v67, v18, -v2
	v_cmp_eq_u32_e64 s1, 3, v17
	s_wait_alu 0xf1ff
	s_delay_alu instid0(VALU_DEP_3)
	v_cndmask_b32_e64 v10, 0, 1, s0
	v_cmp_eq_u32_e64 s0, 0x40f, v20
	v_cvt_f32_f16_e32 v20, v21
	v_lshrrev_b32_e32 v21, 2, v16
	v_and_or_b32 v14, 0x1ff, v15, v14
	v_and_or_b32 v10, 0xffe, v22, v10
	s_wait_alu 0xf1ff
	v_cndmask_b32_e64 v8, v8, v4, s0
	v_cmp_lt_i32_e64 s0, 5, v17
	v_cvt_f64_f32_e32 v[16:17], v20
	v_sub_nc_u32_e32 v4, 0x3f1, v26
	v_or_b32_e32 v22, 0x1000, v10
	v_lshrrev_b32_e32 v27, 8, v15
	s_or_b32 s0, s1, s0
	v_bfe_u32 v28, v15, 20, 11
	s_wait_alu 0xfffe
	v_add_co_ci_u32_e64 v20, s0, 0, v21, s0
	v_cmp_gt_i32_e64 s0, 31, v19
	v_med3_i32 v4, v4, 0, 13
	v_lshrrev_b32_e32 v21, 16, v5
	v_cvt_f32_f16_e32 v2, v2
	v_lshrrev_b32_e32 v15, 16, v15
	s_wait_alu 0xf1ff
	v_cndmask_b32_e64 v20, 0x7c00, v20, s0
	v_cmp_ne_u32_e64 s0, 0, v12
	v_lshrrev_b32_e32 v5, v4, v22
	v_and_or_b32 v8, 0x8000, v21, v8
	s_wait_alu 0xf1ff
	s_delay_alu instid0(VALU_DEP_3) | instskip(SKIP_2) | instid1(VALU_DEP_3)
	v_cndmask_b32_e64 v12, 0, 1, s0
	v_cmp_ne_u32_e64 s0, 0, v14
	v_lshlrev_b32_e32 v4, v4, v5
	v_lshl_or_b32 v12, v12, 9, 0x7c00
	s_wait_alu 0xf1ff
	s_delay_alu instid0(VALU_DEP_3) | instskip(NEXT) | instid1(VALU_DEP_3)
	v_cndmask_b32_e64 v14, 0, 1, s0
	v_cmp_ne_u32_e64 s0, v4, v22
	v_add_nc_u32_e32 v22, 0xfffffc10, v26
	v_sub_nc_u32_e32 v26, 0x3f1, v28
	s_delay_alu instid0(VALU_DEP_4)
	v_and_or_b32 v14, 0xffe, v27, v14
	s_wait_alu 0xf1ff
	v_cndmask_b32_e64 v4, 0, 1, s0
	v_cmp_gt_i32_e64 s0, 1, v22
	v_med3_i32 v18, v26, 0, 13
	v_or_b32_e32 v27, 0x1000, v14
	s_delay_alu instid0(VALU_DEP_4) | instskip(SKIP_1) | instid1(VALU_DEP_3)
	v_or_b32_e32 v4, v5, v4
	v_lshl_or_b32 v5, v22, 12, v10
	v_lshrrev_b32_e32 v29, v18, v27
	s_wait_alu 0xf1ff
	s_delay_alu instid0(VALU_DEP_2) | instskip(SKIP_3) | instid1(VALU_DEP_4)
	v_cndmask_b32_e64 v26, v5, v4, s0
	v_cmp_eq_u32_e64 s0, 0x40f, v19
	v_cvt_f64_f32_e32 v[4:5], v2
	v_lshlrev_b32_e32 v18, v18, v29
	v_and_b32_e32 v2, 7, v26
	s_wait_alu 0xf1ff
	v_cndmask_b32_e64 v19, v20, v12, s0
	v_lshrrev_b32_e32 v20, 16, v13
	v_cmp_ne_u32_e64 s1, v18, v27
	v_mul_f64_e32 v[12:13], s[10:11], v[16:17]
	v_cmp_lt_i32_e64 s0, 5, v2
	s_delay_alu instid0(VALU_DEP_4)
	v_and_or_b32 v16, 0x8000, v20, v19
	s_wait_alu 0xf1ff
	v_cndmask_b32_e64 v17, 0, 1, s1
	v_cmp_eq_u32_e64 s1, 3, v2
	v_and_b32_e32 v2, 0xffff, v8
	v_lshrrev_b32_e32 v8, 2, v26
	v_add_nc_u32_e32 v20, 0xfffffc10, v28
	v_or_b32_e32 v17, v29, v17
	s_or_b32 s0, s1, s0
	v_lshrrev_b32_e32 v26, 16, v9
	s_wait_alu 0xfffe
	v_add_co_ci_u32_e64 v8, s0, 0, v8, s0
	v_cmp_ne_u32_e64 s0, 0, v10
	v_lshl_or_b32 v18, v20, 12, v14
	v_lshl_or_b32 v21, v16, 16, v2
	v_mul_f16_e32 v19, v66, v26
	s_wait_alu 0xf1ff
	v_cndmask_b32_e64 v10, 0, 1, s0
	v_cmp_gt_i32_e64 s0, 1, v20
	s_delay_alu instid0(VALU_DEP_3) | instskip(SKIP_1) | instid1(VALU_DEP_2)
	v_fmac_f16_e32 v19, v64, v9
	s_wait_alu 0xf1ff
	v_cndmask_b32_e64 v18, v18, v17, s0
	v_cmp_gt_i32_e64 s0, 31, v22
	s_wait_alu 0xf1ff
	s_delay_alu instid0(VALU_DEP_1)
	v_cndmask_b32_e64 v2, 0x7c00, v8, s0
	v_add_co_u32 v16, s0, v6, s6
	s_wait_alu 0xf1ff
	v_add_co_ci_u32_e64 v17, s0, s7, v7, s0
	v_lshl_or_b32 v8, v10, 9, 0x7c00
	v_and_b32_e32 v10, 7, v18
	v_cmp_eq_u32_e64 s0, 0x40f, v22
	v_mul_f64_e32 v[4:5], s[10:11], v[4:5]
	v_lshrrev_b32_e32 v22, 16, v11
	v_cvt_f32_f16_e32 v11, v19
	v_cmp_eq_u32_e64 s1, 3, v10
	s_wait_alu 0xf1ff
	v_cndmask_b32_e64 v8, v2, v8, s0
	v_cmp_lt_i32_e64 s0, 5, v10
	v_lshrrev_b32_e32 v2, 2, v18
	v_and_or_b32 v10, 0x1ff, v13, v12
	v_lshrrev_b32_e32 v27, 8, v13
	v_bfe_u32 v28, v13, 20, 11
	s_or_b32 s0, s1, s0
	v_mad_co_u64_u32 v[18:19], null, s4, v63, 0
	s_wait_alu 0xfffe
	v_add_co_ci_u32_e64 v2, s0, 0, v2, s0
	v_cmp_ne_u32_e64 s0, 0, v10
	v_cvt_f64_f32_e32 v[10:11], v11
	v_and_or_b32 v6, 0x8000, v22, v8
	global_store_b32 v[16:17], v21, off
	v_lshrrev_b32_e32 v13, 16, v13
	s_wait_alu 0xf1ff
	v_cndmask_b32_e64 v12, 0, 1, s0
	v_cmp_ne_u32_e64 s0, 0, v14
	s_delay_alu instid0(VALU_DEP_2) | instskip(SKIP_1) | instid1(VALU_DEP_2)
	v_and_or_b32 v12, 0xffe, v27, v12
	s_wait_alu 0xf1ff
	v_cndmask_b32_e64 v14, 0, 1, s0
	v_sub_nc_u32_e32 v27, 0x3f1, v28
	v_cmp_gt_i32_e64 s0, 31, v20
	v_or_b32_e32 v30, 0x1000, v12
	s_delay_alu instid0(VALU_DEP_4) | instskip(NEXT) | instid1(VALU_DEP_4)
	v_lshl_or_b32 v14, v14, 9, 0x7c00
	v_med3_i32 v27, v27, 0, 13
	s_wait_alu 0xf1ff
	v_cndmask_b32_e64 v29, 0x7c00, v2, s0
	v_mov_b32_e32 v2, v19
	v_cmp_eq_u32_e64 s0, 0x40f, v20
	v_and_or_b32 v4, 0x1ff, v5, v4
	s_delay_alu instid0(VALU_DEP_3)
	v_mad_co_u64_u32 v[19:20], null, s5, v63, v[2:3]
	v_lshrrev_b32_e32 v2, v27, v30
	s_wait_alu 0xf1ff
	v_cndmask_b32_e64 v14, v29, v14, s0
	v_add_nc_u32_e32 v20, 0xfffffc10, v28
	v_bfe_u32 v22, v5, 20, 11
	v_lshlrev_b32_e32 v7, v27, v2
	s_delay_alu instid0(VALU_DEP_4) | instskip(SKIP_4) | instid1(VALU_DEP_4)
	v_and_or_b32 v14, 0x8000, v15, v14
	v_and_b32_e32 v15, 0xffff, v6
	v_mul_f16_e32 v6, v66, v9
	v_lshrrev_b32_e32 v9, 8, v5
	v_cmp_ne_u32_e64 s0, v7, v30
	v_lshl_or_b32 v14, v14, 16, v15
	s_delay_alu instid0(VALU_DEP_4)
	v_fma_f16 v21, v64, v26, -v6
	v_mul_f64_e32 v[6:7], s[10:11], v[10:11]
	s_wait_alu 0xf1ff
	v_cndmask_b32_e64 v8, 0, 1, s0
	v_cmp_ne_u32_e64 s0, 0, v4
	v_sub_nc_u32_e32 v11, 0x3f1, v22
	v_cvt_f32_f16_e32 v10, v21
	s_delay_alu instid0(VALU_DEP_4)
	v_or_b32_e32 v2, v2, v8
	s_wait_alu 0xf1ff
	v_cndmask_b32_e64 v4, 0, 1, s0
	v_lshl_or_b32 v8, v20, 12, v12
	v_cmp_gt_i32_e64 s0, 1, v20
	v_med3_i32 v23, v11, 0, 13
	s_delay_alu instid0(VALU_DEP_4) | instskip(SKIP_1) | instid1(VALU_DEP_3)
	v_and_or_b32 v4, 0xffe, v9, v4
	s_wait_alu 0xf1ff
	v_cndmask_b32_e64 v2, v8, v2, s0
	v_cvt_f64_f32_e32 v[8:9], v10
	v_lshlrev_b64_e32 v[10:11], 2, v[18:19]
	v_or_b32_e32 v21, 0x1000, v4
	v_lshrrev_b32_e32 v19, 16, v3
	v_and_b32_e32 v15, 7, v2
	v_lshrrev_b32_e32 v2, 2, v2
	s_delay_alu instid0(VALU_DEP_4) | instskip(SKIP_3) | instid1(VALU_DEP_3)
	v_lshrrev_b32_e32 v18, v23, v21
	v_add_co_u32 v10, s0, v0, v10
	s_wait_alu 0xf1ff
	v_add_co_ci_u32_e64 v11, s0, v1, v11, s0
	v_lshlrev_b32_e32 v0, v23, v18
	v_cmp_lt_i32_e64 s0, 5, v15
	v_cmp_eq_u32_e64 s1, 3, v15
	v_mul_f16_e32 v1, v65, v19
	v_add_nc_u32_e32 v15, 0xfffffc10, v22
	v_cmp_ne_u32_e64 s2, v0, v21
	s_delay_alu instid0(VALU_DEP_4) | instskip(NEXT) | instid1(VALU_DEP_3)
	s_or_b32 s0, s1, s0
	v_fmac_f16_e32 v1, v62, v3
	v_mul_f16_e32 v3, v65, v3
	s_delay_alu instid0(VALU_DEP_3)
	v_cndmask_b32_e64 v0, 0, 1, s2
	s_wait_alu 0xfffe
	v_add_co_ci_u32_e64 v21, s0, 0, v2, s0
	v_and_or_b32 v6, 0x1ff, v7, v6
	v_cmp_gt_i32_e64 s0, 1, v15
	v_or_b32_e32 v2, v18, v0
	v_lshl_or_b32 v18, v15, 12, v4
	v_cvt_f32_f16_e32 v1, v1
	v_fma_f16 v3, v62, v19, -v3
	v_lshrrev_b32_e32 v22, 8, v7
	v_bfe_u32 v23, v7, 20, 11
	s_wait_alu 0xf1ff
	v_cndmask_b32_e64 v18, v18, v2, s0
	v_cmp_ne_u32_e64 s0, 0, v6
	v_cvt_f64_f32_e32 v[0:1], v1
	v_cvt_f32_f16_e32 v19, v3
	v_cmp_eq_u32_e64 s2, 0x40f, v20
	v_mul_f64_e32 v[2:3], s[10:11], v[8:9]
	s_wait_alu 0xf1ff
	v_cndmask_b32_e64 v6, 0, 1, s0
	v_cmp_ne_u32_e64 s0, 0, v12
	v_cvt_f64_f32_e32 v[8:9], v19
	v_and_b32_e32 v19, 7, v18
	v_lshrrev_b32_e32 v18, 2, v18
	v_and_or_b32 v22, 0xffe, v22, v6
	s_wait_alu 0xf1ff
	v_cndmask_b32_e64 v12, 0, 1, s0
	v_cmp_gt_i32_e64 s0, 31, v20
	v_sub_nc_u32_e32 v6, 0x3f1, v23
	v_cmp_eq_u32_e64 s1, 3, v19
	v_or_b32_e32 v26, 0x1000, v22
	v_add_nc_u32_e32 v20, 0xfffffc10, v23
	s_wait_alu 0xf1ff
	v_cndmask_b32_e64 v21, 0x7c00, v21, s0
	v_cmp_lt_i32_e64 s0, 5, v19
	v_med3_i32 v6, v6, 0, 13
	v_lshl_or_b32 v12, v12, 9, 0x7c00
	v_lshrrev_b32_e32 v7, 16, v7
	s_delay_alu instid0(VALU_DEP_4) | instskip(NEXT) | instid1(VALU_DEP_3)
	s_or_b32 s0, s1, s0
	v_lshrrev_b32_e32 v19, v6, v26
	s_wait_alu 0xfffe
	v_add_co_ci_u32_e64 v18, s0, 0, v18, s0
	v_cmp_ne_u32_e64 s0, 0, v4
	v_cndmask_b32_e64 v12, v21, v12, s2
	v_lshlrev_b32_e32 v6, v6, v19
	s_wait_alu 0xf1ff
	s_delay_alu instid0(VALU_DEP_3) | instskip(SKIP_2) | instid1(VALU_DEP_3)
	v_cndmask_b32_e64 v4, 0, 1, s0
	v_cmp_gt_i32_e64 s0, 31, v15
	v_and_or_b32 v12, 0x8000, v13, v12
	v_lshl_or_b32 v4, v4, 9, 0x7c00
	s_wait_alu 0xf1ff
	s_delay_alu instid0(VALU_DEP_3)
	v_cndmask_b32_e64 v18, 0x7c00, v18, s0
	v_cmp_ne_u32_e64 s0, v6, v26
	v_mul_f64_e32 v[0:1], s[10:11], v[0:1]
	v_and_b32_e32 v12, 0xffff, v12
	v_and_or_b32 v2, 0x1ff, v3, v2
	s_wait_alu 0xf1ff
	v_cndmask_b32_e64 v6, 0, 1, s0
	v_cmp_eq_u32_e64 s0, 0x40f, v15
	v_mul_f64_e32 v[8:9], s[10:11], v[8:9]
	s_delay_alu instid0(VALU_DEP_3) | instskip(SKIP_1) | instid1(VALU_DEP_3)
	v_or_b32_e32 v6, v19, v6
	s_wait_alu 0xf1ff
	v_cndmask_b32_e64 v15, v18, v4, s0
	v_lshl_or_b32 v19, v20, 12, v22
	v_cmp_gt_i32_e64 s0, 1, v20
	v_lshrrev_b32_e32 v18, 16, v5
	v_mad_co_u64_u32 v[4:5], null, 0xe0, s4, v[16:17]
	v_lshrrev_b32_e32 v16, 8, v3
	s_wait_alu 0xf1ff
	v_cndmask_b32_e64 v6, v19, v6, s0
	v_cmp_ne_u32_e64 s0, 0, v2
	v_bfe_u32 v17, v3, 20, 11
	v_and_or_b32 v13, 0x8000, v18, v15
	s_delay_alu instid0(VALU_DEP_4)
	v_and_b32_e32 v15, 7, v6
	s_wait_alu 0xf1ff
	v_cndmask_b32_e64 v2, 0, 1, s0
	v_sub_nc_u32_e32 v18, 0x3f1, v17
	v_add_nc_u32_e32 v17, 0xfffffc10, v17
	v_cmp_lt_i32_e64 s0, 5, v15
	s_delay_alu instid0(VALU_DEP_4)
	v_and_or_b32 v16, 0xffe, v16, v2
	v_mov_b32_e32 v2, v5
	v_cmp_eq_u32_e64 s1, 3, v15
	v_lshrrev_b32_e32 v15, 2, v6
	v_med3_i32 v18, v18, 0, 13
	v_or_b32_e32 v19, 0x1000, v16
	v_mad_co_u64_u32 v[5:6], null, 0xe0, s5, v[2:3]
	s_or_b32 s0, s1, s0
	v_lshrrev_b32_e32 v3, 16, v3
	s_wait_alu 0xfffe
	v_add_co_ci_u32_e64 v6, s0, 0, v15, s0
	v_lshrrev_b32_e32 v2, v18, v19
	v_cmp_ne_u32_e64 s0, 0, v22
	v_and_or_b32 v0, 0x1ff, v1, v0
	v_bfe_u32 v21, v1, 20, 11
	v_and_or_b32 v8, 0x1ff, v9, v8
	v_lshlrev_b32_e32 v18, v18, v2
	s_wait_alu 0xf1ff
	v_cndmask_b32_e64 v15, 0, 1, s0
	v_cmp_gt_i32_e64 s0, 31, v20
	v_lshrrev_b32_e32 v22, 8, v9
	v_bfe_u32 v23, v9, 20, 11
	s_delay_alu instid0(VALU_DEP_4)
	v_lshl_or_b32 v15, v15, 9, 0x7c00
	s_wait_alu 0xf1ff
	v_cndmask_b32_e64 v6, 0x7c00, v6, s0
	v_cmp_ne_u32_e64 s0, v18, v19
	v_lshrrev_b32_e32 v19, 8, v1
	v_lshrrev_b32_e32 v1, 16, v1
	s_wait_alu 0xf1ff
	s_delay_alu instid0(VALU_DEP_3) | instskip(SKIP_1) | instid1(VALU_DEP_2)
	v_cndmask_b32_e64 v18, 0, 1, s0
	v_cmp_ne_u32_e64 s0, 0, v0
	v_or_b32_e32 v2, v2, v18
	s_wait_alu 0xf1ff
	s_delay_alu instid0(VALU_DEP_2) | instskip(SKIP_2) | instid1(VALU_DEP_3)
	v_cndmask_b32_e64 v0, 0, 1, s0
	v_cmp_ne_u32_e64 s0, 0, v8
	v_lshl_or_b32 v18, v17, 12, v16
	v_and_or_b32 v0, 0xffe, v19, v0
	v_sub_nc_u32_e32 v19, 0x3f1, v21
	s_wait_alu 0xf1ff
	v_cndmask_b32_e64 v8, 0, 1, s0
	v_cmp_gt_i32_e64 s0, 1, v17
	s_delay_alu instid0(VALU_DEP_3) | instskip(NEXT) | instid1(VALU_DEP_3)
	v_med3_i32 v19, v19, 0, 13
	v_and_or_b32 v8, 0xffe, v22, v8
	s_wait_alu 0xf1ff
	s_delay_alu instid0(VALU_DEP_3)
	v_cndmask_b32_e64 v2, v18, v2, s0
	v_or_b32_e32 v18, 0x1000, v0
	v_sub_nc_u32_e32 v22, 0x3f1, v23
	v_cmp_eq_u32_e64 s0, 0x40f, v20
	v_or_b32_e32 v26, 0x1000, v8
	v_and_b32_e32 v20, 7, v2
	v_lshrrev_b32_e32 v2, 2, v2
	v_med3_i32 v22, v22, 0, 13
	s_wait_alu 0xf1ff
	v_cndmask_b32_e64 v6, v6, v15, s0
	v_lshrrev_b32_e32 v15, v19, v18
	v_cmp_lt_i32_e64 s0, 5, v20
	v_cmp_eq_u32_e64 s1, 3, v20
	v_lshrrev_b32_e32 v20, v22, v26
	v_and_or_b32 v6, 0x8000, v7, v6
	v_lshlrev_b32_e32 v19, v19, v15
	s_delay_alu instid0(VALU_DEP_4) | instskip(SKIP_2) | instid1(VALU_DEP_2)
	s_or_b32 s0, s1, s0
	s_wait_alu 0xfffe
	v_add_co_ci_u32_e64 v2, s0, 0, v2, s0
	v_cmp_ne_u32_e64 s2, v19, v18
	v_add_nc_u32_e32 v19, 0xfffffc10, v21
	v_lshlrev_b32_e32 v21, v22, v20
	v_add_nc_u32_e32 v22, 0xfffffc10, v23
	s_wait_alu 0xf1ff
	v_cndmask_b32_e64 v18, 0, 1, s2
	s_delay_alu instid0(VALU_DEP_3) | instskip(NEXT) | instid1(VALU_DEP_2)
	v_cmp_ne_u32_e64 s0, v21, v26
	v_or_b32_e32 v15, v15, v18
	v_lshl_or_b32 v18, v19, 12, v0
	s_wait_alu 0xf1ff
	s_delay_alu instid0(VALU_DEP_3) | instskip(SKIP_2) | instid1(VALU_DEP_1)
	v_cndmask_b32_e64 v21, 0, 1, s0
	v_cmp_ne_u32_e64 s0, 0, v16
	s_wait_alu 0xf1ff
	v_cndmask_b32_e64 v16, 0, 1, s0
	v_cmp_gt_i32_e64 s0, 1, v19
	s_delay_alu instid0(VALU_DEP_2) | instskip(SKIP_1) | instid1(VALU_DEP_2)
	v_lshl_or_b32 v16, v16, 9, 0x7c00
	s_wait_alu 0xf1ff
	v_cndmask_b32_e64 v15, v18, v15, s0
	v_cmp_gt_i32_e64 s0, 31, v17
	v_or_b32_e32 v18, v20, v21
	v_lshl_or_b32 v20, v22, 12, v8
	s_delay_alu instid0(VALU_DEP_4) | instskip(SKIP_3) | instid1(VALU_DEP_3)
	v_and_b32_e32 v21, 7, v15
	s_wait_alu 0xf1ff
	v_cndmask_b32_e64 v2, 0x7c00, v2, s0
	v_cmp_gt_i32_e64 s0, 1, v22
	v_cmp_eq_u32_e64 s1, 3, v21
	s_wait_alu 0xf1ff
	s_delay_alu instid0(VALU_DEP_2) | instskip(SKIP_1) | instid1(VALU_DEP_2)
	v_cndmask_b32_e64 v18, v20, v18, s0
	v_cmp_eq_u32_e64 s0, 0x40f, v17
	v_and_b32_e32 v7, 7, v18
	s_wait_alu 0xf1ff
	s_delay_alu instid0(VALU_DEP_2) | instskip(SKIP_1) | instid1(VALU_DEP_3)
	v_cndmask_b32_e64 v2, v2, v16, s0
	v_cmp_lt_i32_e64 s0, 5, v21
	v_cmp_lt_i32_e64 s2, 5, v7
	s_delay_alu instid0(VALU_DEP_3) | instskip(SKIP_1) | instid1(VALU_DEP_4)
	v_and_or_b32 v2, 0x8000, v3, v2
	v_lshrrev_b32_e32 v3, 2, v15
	s_or_b32 s0, s1, s0
	v_cmp_eq_u32_e64 s3, 3, v7
	v_lshrrev_b32_e32 v7, 2, v18
	s_wait_alu 0xfffe
	v_add_co_ci_u32_e64 v3, s0, 0, v3, s0
	v_cmp_ne_u32_e64 s0, 0, v0
	s_wait_alu 0xf1ff
	s_delay_alu instid0(VALU_DEP_1)
	v_cndmask_b32_e64 v0, 0, 1, s0
	s_or_b32 s0, s3, s2
	s_wait_alu 0xfffe
	v_add_co_ci_u32_e64 v7, s0, 0, v7, s0
	v_cmp_ne_u32_e64 s0, 0, v8
	v_lshl_or_b32 v0, v0, 9, 0x7c00
	s_wait_alu 0xf1ff
	s_delay_alu instid0(VALU_DEP_2) | instskip(SKIP_1) | instid1(VALU_DEP_2)
	v_cndmask_b32_e64 v8, 0, 1, s0
	v_cmp_gt_i32_e64 s0, 31, v19
	v_lshl_or_b32 v8, v8, 9, 0x7c00
	s_wait_alu 0xf1ff
	s_delay_alu instid0(VALU_DEP_2) | instskip(SKIP_2) | instid1(VALU_DEP_1)
	v_cndmask_b32_e64 v3, 0x7c00, v3, s0
	v_cmp_gt_i32_e64 s0, 31, v22
	s_wait_alu 0xf1ff
	v_cndmask_b32_e64 v7, 0x7c00, v7, s0
	v_cmp_eq_u32_e64 s0, 0x40f, v19
	s_wait_alu 0xf1ff
	s_delay_alu instid0(VALU_DEP_1) | instskip(SKIP_2) | instid1(VALU_DEP_3)
	v_cndmask_b32_e64 v0, v3, v0, s0
	v_cmp_eq_u32_e64 s0, 0x40f, v22
	v_and_b32_e32 v3, 0xffff, v6
	v_and_or_b32 v0, 0x8000, v1, v0
	s_wait_alu 0xf1ff
	s_delay_alu instid0(VALU_DEP_3) | instskip(SKIP_4) | instid1(VALU_DEP_4)
	v_cndmask_b32_e64 v6, v7, v8, s0
	v_lshrrev_b32_e32 v7, 16, v9
	v_lshl_or_b32 v9, v2, 16, v3
	v_add_co_u32 v2, s0, v4, s8
	v_and_b32_e32 v0, 0xffff, v0
	v_and_or_b32 v1, 0x8000, v7, v6
	s_wait_alu 0xf1ff
	v_add_co_ci_u32_e64 v3, s0, s9, v5, s0
	v_lshl_or_b32 v8, v13, 16, v12
	s_delay_alu instid0(VALU_DEP_3)
	v_lshl_or_b32 v6, v1, 16, v0
	v_add_co_u32 v0, s0, v2, s6
	s_wait_alu 0xf1ff
	v_add_co_ci_u32_e64 v1, s0, s7, v3, s0
	global_store_b32 v[10:11], v14, off
	global_store_b32 v[4:5], v8, off
	;; [unrolled: 1-line block ×4, first 2 shown]
	s_and_b32 exec_lo, exec_lo, vcc_lo
	s_cbranch_execz .LBB0_31
; %bb.30:
	global_load_b32 v2, v[24:25], off offset:2240
	ds_load_b32 v3, v61 offset:2240
	ds_load_b32 v6, v61 offset:4592
	s_wait_dscnt 0x1
	v_lshrrev_b32_e32 v4, 16, v3
	s_wait_loadcnt 0x0
	v_lshrrev_b32_e32 v5, 16, v2
	s_delay_alu instid0(VALU_DEP_1) | instskip(SKIP_1) | instid1(VALU_DEP_2)
	v_mul_f16_e32 v7, v4, v5
	v_mul_f16_e32 v5, v3, v5
	v_fmac_f16_e32 v7, v3, v2
	s_delay_alu instid0(VALU_DEP_2) | instskip(NEXT) | instid1(VALU_DEP_2)
	v_fma_f16 v2, v2, v4, -v5
	v_cvt_f32_f16_e32 v3, v7
	s_delay_alu instid0(VALU_DEP_2) | instskip(NEXT) | instid1(VALU_DEP_2)
	v_cvt_f32_f16_e32 v4, v2
	v_cvt_f64_f32_e32 v[2:3], v3
	s_delay_alu instid0(VALU_DEP_2) | instskip(NEXT) | instid1(VALU_DEP_2)
	v_cvt_f64_f32_e32 v[4:5], v4
	v_mul_f64_e32 v[2:3], s[10:11], v[2:3]
	s_delay_alu instid0(VALU_DEP_2) | instskip(NEXT) | instid1(VALU_DEP_2)
	v_mul_f64_e32 v[4:5], s[10:11], v[4:5]
	v_and_or_b32 v2, 0x1ff, v3, v2
	s_delay_alu instid0(VALU_DEP_2)
	v_and_or_b32 v4, 0x1ff, v5, v4
	v_lshrrev_b32_e32 v7, 8, v3
	v_bfe_u32 v8, v3, 20, 11
	v_lshrrev_b32_e32 v9, 8, v5
	v_cmp_ne_u32_e32 vcc_lo, 0, v2
	v_bfe_u32 v10, v5, 20, 11
	v_lshrrev_b32_e32 v3, 16, v3
	v_sub_nc_u32_e32 v11, 0x3f1, v8
	v_lshrrev_b32_e32 v5, 16, v5
	s_wait_alu 0xfffd
	v_cndmask_b32_e64 v2, 0, 1, vcc_lo
	v_cmp_ne_u32_e32 vcc_lo, 0, v4
	s_delay_alu instid0(VALU_DEP_2) | instskip(SKIP_3) | instid1(VALU_DEP_2)
	v_and_or_b32 v2, 0xffe, v7, v2
	s_wait_alu 0xfffd
	v_cndmask_b32_e64 v4, 0, 1, vcc_lo
	v_sub_nc_u32_e32 v7, 0x3f1, v10
	v_and_or_b32 v4, 0xffe, v9, v4
	v_med3_i32 v9, v11, 0, 13
	v_or_b32_e32 v11, 0x1000, v2
	s_delay_alu instid0(VALU_DEP_4) | instskip(NEXT) | instid1(VALU_DEP_4)
	v_med3_i32 v7, v7, 0, 13
	v_or_b32_e32 v12, 0x1000, v4
	s_delay_alu instid0(VALU_DEP_3) | instskip(NEXT) | instid1(VALU_DEP_2)
	v_lshrrev_b32_e32 v13, v9, v11
	v_lshrrev_b32_e32 v14, v7, v12
	s_delay_alu instid0(VALU_DEP_2) | instskip(NEXT) | instid1(VALU_DEP_2)
	v_lshlrev_b32_e32 v9, v9, v13
	v_lshlrev_b32_e32 v7, v7, v14
	s_delay_alu instid0(VALU_DEP_2) | instskip(SKIP_2) | instid1(VALU_DEP_3)
	v_cmp_ne_u32_e32 vcc_lo, v9, v11
	s_wait_alu 0xfffd
	v_cndmask_b32_e64 v9, 0, 1, vcc_lo
	v_cmp_ne_u32_e32 vcc_lo, v7, v12
	s_delay_alu instid0(VALU_DEP_2) | instskip(SKIP_3) | instid1(VALU_DEP_2)
	v_or_b32_e32 v9, v13, v9
	v_add_nc_u32_e32 v8, 0xfffffc10, v8
	s_wait_alu 0xfffd
	v_cndmask_b32_e64 v7, 0, 1, vcc_lo
	v_lshl_or_b32 v11, v8, 12, v2
	s_delay_alu instid0(VALU_DEP_2) | instskip(SKIP_2) | instid1(VALU_DEP_2)
	v_or_b32_e32 v7, v14, v7
	v_add_nc_u32_e32 v10, 0xfffffc10, v10
	v_cmp_gt_i32_e32 vcc_lo, 1, v8
	v_lshl_or_b32 v12, v10, 12, v4
	s_wait_alu 0xfffd
	v_cndmask_b32_e32 v9, v11, v9, vcc_lo
	v_cmp_gt_i32_e32 vcc_lo, 1, v10
	s_wait_alu 0xfffd
	v_cndmask_b32_e32 v7, v12, v7, vcc_lo
	v_cmp_ne_u32_e32 vcc_lo, 0, v2
	s_wait_alu 0xfffd
	v_cndmask_b32_e64 v2, 0, 1, vcc_lo
	v_cmp_ne_u32_e32 vcc_lo, 0, v4
	s_delay_alu instid0(VALU_DEP_2) | instskip(SKIP_4) | instid1(VALU_DEP_3)
	v_lshl_or_b32 v2, v2, 9, 0x7c00
	v_and_b32_e32 v11, 7, v9
	s_wait_alu 0xfffd
	v_cndmask_b32_e64 v4, 0, 1, vcc_lo
	v_lshrrev_b32_e32 v9, 2, v9
	v_cmp_lt_i32_e32 vcc_lo, 5, v11
	v_cmp_eq_u32_e64 s0, 3, v11
	s_delay_alu instid0(VALU_DEP_4) | instskip(NEXT) | instid1(VALU_DEP_2)
	v_lshl_or_b32 v4, v4, 9, 0x7c00
	s_or_b32 vcc_lo, s0, vcc_lo
	s_wait_alu 0xfffe
	v_add_co_ci_u32_e32 v9, vcc_lo, 0, v9, vcc_lo
	v_and_b32_e32 v12, 7, v7
	v_lshrrev_b32_e32 v7, 2, v7
	s_delay_alu instid0(VALU_DEP_2) | instskip(SKIP_1) | instid1(VALU_DEP_1)
	v_cmp_lt_i32_e64 s1, 5, v12
	v_cmp_eq_u32_e64 s2, 3, v12
	s_or_b32 vcc_lo, s2, s1
	s_wait_alu 0xfffe
	v_add_co_ci_u32_e32 v7, vcc_lo, 0, v7, vcc_lo
	v_cmp_gt_i32_e32 vcc_lo, 31, v8
	s_wait_alu 0xfffd
	v_cndmask_b32_e32 v9, 0x7c00, v9, vcc_lo
	v_cmp_gt_i32_e32 vcc_lo, 31, v10
	s_wait_alu 0xfffd
	v_cndmask_b32_e32 v7, 0x7c00, v7, vcc_lo
	v_cmp_eq_u32_e32 vcc_lo, 0x40f, v8
	s_wait_alu 0xfffd
	v_cndmask_b32_e32 v2, v9, v2, vcc_lo
	v_cmp_eq_u32_e32 vcc_lo, 0x40f, v10
	s_delay_alu instid0(VALU_DEP_2)
	v_and_or_b32 v2, 0x8000, v3, v2
	s_wait_alu 0xfffd
	v_cndmask_b32_e32 v4, v7, v4, vcc_lo
	v_add_co_u32 v0, vcc_lo, v0, s8
	s_wait_alu 0xfffd
	v_add_co_ci_u32_e32 v1, vcc_lo, s9, v1, vcc_lo
	s_delay_alu instid0(VALU_DEP_3) | instskip(SKIP_1) | instid1(VALU_DEP_1)
	v_and_or_b32 v3, 0x8000, v5, v4
	v_and_b32_e32 v2, 0xffff, v2
	v_lshl_or_b32 v2, v3, 16, v2
	s_wait_dscnt 0x0
	v_lshrrev_b32_e32 v3, 16, v6
	global_store_b32 v[0:1], v2, off
	global_load_b32 v2, v[24:25], off offset:4592
	s_wait_loadcnt 0x0
	v_lshrrev_b32_e32 v4, 16, v2
	s_delay_alu instid0(VALU_DEP_1) | instskip(SKIP_1) | instid1(VALU_DEP_2)
	v_mul_f16_e32 v5, v3, v4
	v_mul_f16_e32 v4, v6, v4
	v_fmac_f16_e32 v5, v6, v2
	s_delay_alu instid0(VALU_DEP_2) | instskip(NEXT) | instid1(VALU_DEP_2)
	v_fma_f16 v2, v2, v3, -v4
	v_cvt_f32_f16_e32 v3, v5
	s_delay_alu instid0(VALU_DEP_2) | instskip(NEXT) | instid1(VALU_DEP_2)
	v_cvt_f32_f16_e32 v4, v2
	v_cvt_f64_f32_e32 v[2:3], v3
	s_delay_alu instid0(VALU_DEP_2) | instskip(NEXT) | instid1(VALU_DEP_2)
	v_cvt_f64_f32_e32 v[4:5], v4
	v_mul_f64_e32 v[2:3], s[10:11], v[2:3]
	s_delay_alu instid0(VALU_DEP_2) | instskip(NEXT) | instid1(VALU_DEP_2)
	v_mul_f64_e32 v[4:5], s[10:11], v[4:5]
	v_and_or_b32 v2, 0x1ff, v3, v2
	s_delay_alu instid0(VALU_DEP_2)
	v_and_or_b32 v4, 0x1ff, v5, v4
	v_lshrrev_b32_e32 v6, 8, v3
	v_bfe_u32 v7, v3, 20, 11
	v_lshrrev_b32_e32 v8, 8, v5
	v_cmp_ne_u32_e32 vcc_lo, 0, v2
	v_bfe_u32 v9, v5, 20, 11
	v_lshrrev_b32_e32 v3, 16, v3
	v_sub_nc_u32_e32 v10, 0x3f1, v7
	v_lshrrev_b32_e32 v5, 16, v5
	s_wait_alu 0xfffd
	v_cndmask_b32_e64 v2, 0, 1, vcc_lo
	v_cmp_ne_u32_e32 vcc_lo, 0, v4
	s_delay_alu instid0(VALU_DEP_2) | instskip(SKIP_4) | instid1(VALU_DEP_3)
	v_and_or_b32 v2, 0xffe, v6, v2
	s_wait_alu 0xfffd
	v_cndmask_b32_e64 v4, 0, 1, vcc_lo
	v_sub_nc_u32_e32 v6, 0x3f1, v9
	v_add_nc_u32_e32 v9, 0xfffffc10, v9
	v_and_or_b32 v4, 0xffe, v8, v4
	v_med3_i32 v8, v10, 0, 13
	v_or_b32_e32 v10, 0x1000, v2
	v_med3_i32 v6, v6, 0, 13
	s_delay_alu instid0(VALU_DEP_4) | instskip(NEXT) | instid1(VALU_DEP_3)
	v_or_b32_e32 v11, 0x1000, v4
	v_lshrrev_b32_e32 v12, v8, v10
	s_delay_alu instid0(VALU_DEP_2) | instskip(NEXT) | instid1(VALU_DEP_2)
	v_lshrrev_b32_e32 v13, v6, v11
	v_lshlrev_b32_e32 v8, v8, v12
	s_delay_alu instid0(VALU_DEP_2) | instskip(NEXT) | instid1(VALU_DEP_2)
	v_lshlrev_b32_e32 v6, v6, v13
	v_cmp_ne_u32_e32 vcc_lo, v8, v10
	s_wait_alu 0xfffd
	v_cndmask_b32_e64 v8, 0, 1, vcc_lo
	s_delay_alu instid0(VALU_DEP_3) | instskip(SKIP_1) | instid1(VALU_DEP_3)
	v_cmp_ne_u32_e32 vcc_lo, v6, v11
	v_lshl_or_b32 v11, v9, 12, v4
	v_or_b32_e32 v8, v12, v8
	s_wait_alu 0xfffd
	v_cndmask_b32_e64 v6, 0, 1, vcc_lo
	s_delay_alu instid0(VALU_DEP_1) | instskip(SKIP_1) | instid1(VALU_DEP_1)
	v_or_b32_e32 v6, v13, v6
	v_add_nc_u32_e32 v7, 0xfffffc10, v7
	v_lshl_or_b32 v10, v7, 12, v2
	v_cmp_gt_i32_e32 vcc_lo, 1, v7
	s_wait_alu 0xfffd
	s_delay_alu instid0(VALU_DEP_2) | instskip(SKIP_1) | instid1(VALU_DEP_2)
	v_cndmask_b32_e32 v8, v10, v8, vcc_lo
	v_cmp_gt_i32_e32 vcc_lo, 1, v9
	v_and_b32_e32 v10, 7, v8
	s_wait_alu 0xfffd
	v_cndmask_b32_e32 v6, v11, v6, vcc_lo
	v_cmp_ne_u32_e32 vcc_lo, 0, v2
	v_lshrrev_b32_e32 v8, 2, v8
	v_cmp_eq_u32_e64 s0, 3, v10
	s_wait_alu 0xfffd
	v_cndmask_b32_e64 v2, 0, 1, vcc_lo
	v_cmp_ne_u32_e32 vcc_lo, 0, v4
	s_delay_alu instid0(VALU_DEP_2) | instskip(SKIP_3) | instid1(VALU_DEP_2)
	v_lshl_or_b32 v2, v2, 9, 0x7c00
	s_wait_alu 0xfffd
	v_cndmask_b32_e64 v4, 0, 1, vcc_lo
	v_cmp_lt_i32_e32 vcc_lo, 5, v10
	v_lshl_or_b32 v4, v4, 9, 0x7c00
	s_or_b32 vcc_lo, s0, vcc_lo
	s_wait_alu 0xfffe
	v_add_co_ci_u32_e32 v8, vcc_lo, 0, v8, vcc_lo
	v_and_b32_e32 v11, 7, v6
	v_lshrrev_b32_e32 v6, 2, v6
	s_delay_alu instid0(VALU_DEP_2) | instskip(SKIP_1) | instid1(VALU_DEP_1)
	v_cmp_lt_i32_e64 s1, 5, v11
	v_cmp_eq_u32_e64 s2, 3, v11
	s_or_b32 vcc_lo, s2, s1
	s_wait_alu 0xfffe
	v_add_co_ci_u32_e32 v6, vcc_lo, 0, v6, vcc_lo
	v_cmp_gt_i32_e32 vcc_lo, 31, v7
	s_wait_alu 0xfffd
	v_cndmask_b32_e32 v8, 0x7c00, v8, vcc_lo
	v_cmp_gt_i32_e32 vcc_lo, 31, v9
	s_wait_alu 0xfffd
	v_cndmask_b32_e32 v6, 0x7c00, v6, vcc_lo
	v_cmp_eq_u32_e32 vcc_lo, 0x40f, v7
	s_wait_alu 0xfffd
	v_cndmask_b32_e32 v2, v8, v2, vcc_lo
	v_cmp_eq_u32_e32 vcc_lo, 0x40f, v9
	s_delay_alu instid0(VALU_DEP_2)
	v_and_or_b32 v2, 0x8000, v3, v2
	s_wait_alu 0xfffd
	v_cndmask_b32_e32 v4, v6, v4, vcc_lo
	v_add_co_u32 v0, vcc_lo, v0, s6
	s_wait_alu 0xfffd
	v_add_co_ci_u32_e32 v1, vcc_lo, s7, v1, vcc_lo
	s_delay_alu instid0(VALU_DEP_3) | instskip(SKIP_1) | instid1(VALU_DEP_1)
	v_and_or_b32 v3, 0x8000, v5, v4
	v_and_b32_e32 v2, 0xffff, v2
	v_lshl_or_b32 v2, v3, 16, v2
	global_store_b32 v[0:1], v2, off
.LBB0_31:
	s_nop 0
	s_sendmsg sendmsg(MSG_DEALLOC_VGPRS)
	s_endpgm
	.section	.rodata,"a",@progbits
	.p2align	6, 0x0
	.amdhsa_kernel bluestein_single_fwd_len1176_dim1_half_op_CI_CI
		.amdhsa_group_segment_fixed_size 4704
		.amdhsa_private_segment_fixed_size 0
		.amdhsa_kernarg_size 104
		.amdhsa_user_sgpr_count 2
		.amdhsa_user_sgpr_dispatch_ptr 0
		.amdhsa_user_sgpr_queue_ptr 0
		.amdhsa_user_sgpr_kernarg_segment_ptr 1
		.amdhsa_user_sgpr_dispatch_id 0
		.amdhsa_user_sgpr_private_segment_size 0
		.amdhsa_wavefront_size32 1
		.amdhsa_uses_dynamic_stack 0
		.amdhsa_enable_private_segment 0
		.amdhsa_system_sgpr_workgroup_id_x 1
		.amdhsa_system_sgpr_workgroup_id_y 0
		.amdhsa_system_sgpr_workgroup_id_z 0
		.amdhsa_system_sgpr_workgroup_info 0
		.amdhsa_system_vgpr_workitem_id 0
		.amdhsa_next_free_vgpr 215
		.amdhsa_next_free_sgpr 16
		.amdhsa_reserve_vcc 1
		.amdhsa_float_round_mode_32 0
		.amdhsa_float_round_mode_16_64 0
		.amdhsa_float_denorm_mode_32 3
		.amdhsa_float_denorm_mode_16_64 3
		.amdhsa_fp16_overflow 0
		.amdhsa_workgroup_processor_mode 1
		.amdhsa_memory_ordered 1
		.amdhsa_forward_progress 0
		.amdhsa_round_robin_scheduling 0
		.amdhsa_exception_fp_ieee_invalid_op 0
		.amdhsa_exception_fp_denorm_src 0
		.amdhsa_exception_fp_ieee_div_zero 0
		.amdhsa_exception_fp_ieee_overflow 0
		.amdhsa_exception_fp_ieee_underflow 0
		.amdhsa_exception_fp_ieee_inexact 0
		.amdhsa_exception_int_div_zero 0
	.end_amdhsa_kernel
	.text
.Lfunc_end0:
	.size	bluestein_single_fwd_len1176_dim1_half_op_CI_CI, .Lfunc_end0-bluestein_single_fwd_len1176_dim1_half_op_CI_CI
                                        ; -- End function
	.section	.AMDGPU.csdata,"",@progbits
; Kernel info:
; codeLenInByte = 41156
; NumSgprs: 18
; NumVgprs: 215
; ScratchSize: 0
; MemoryBound: 0
; FloatMode: 240
; IeeeMode: 1
; LDSByteSize: 4704 bytes/workgroup (compile time only)
; SGPRBlocks: 2
; VGPRBlocks: 26
; NumSGPRsForWavesPerEU: 18
; NumVGPRsForWavesPerEU: 215
; Occupancy: 7
; WaveLimiterHint : 1
; COMPUTE_PGM_RSRC2:SCRATCH_EN: 0
; COMPUTE_PGM_RSRC2:USER_SGPR: 2
; COMPUTE_PGM_RSRC2:TRAP_HANDLER: 0
; COMPUTE_PGM_RSRC2:TGID_X_EN: 1
; COMPUTE_PGM_RSRC2:TGID_Y_EN: 0
; COMPUTE_PGM_RSRC2:TGID_Z_EN: 0
; COMPUTE_PGM_RSRC2:TIDIG_COMP_CNT: 0
	.text
	.p2alignl 7, 3214868480
	.fill 96, 4, 3214868480
	.type	__hip_cuid_3ca467978deddc49,@object ; @__hip_cuid_3ca467978deddc49
	.section	.bss,"aw",@nobits
	.globl	__hip_cuid_3ca467978deddc49
__hip_cuid_3ca467978deddc49:
	.byte	0                               ; 0x0
	.size	__hip_cuid_3ca467978deddc49, 1

	.ident	"AMD clang version 19.0.0git (https://github.com/RadeonOpenCompute/llvm-project roc-6.4.0 25133 c7fe45cf4b819c5991fe208aaa96edf142730f1d)"
	.section	".note.GNU-stack","",@progbits
	.addrsig
	.addrsig_sym __hip_cuid_3ca467978deddc49
	.amdgpu_metadata
---
amdhsa.kernels:
  - .args:
      - .actual_access:  read_only
        .address_space:  global
        .offset:         0
        .size:           8
        .value_kind:     global_buffer
      - .actual_access:  read_only
        .address_space:  global
        .offset:         8
        .size:           8
        .value_kind:     global_buffer
      - .actual_access:  read_only
        .address_space:  global
        .offset:         16
        .size:           8
        .value_kind:     global_buffer
      - .actual_access:  read_only
        .address_space:  global
        .offset:         24
        .size:           8
        .value_kind:     global_buffer
      - .actual_access:  read_only
        .address_space:  global
        .offset:         32
        .size:           8
        .value_kind:     global_buffer
      - .offset:         40
        .size:           8
        .value_kind:     by_value
      - .address_space:  global
        .offset:         48
        .size:           8
        .value_kind:     global_buffer
      - .address_space:  global
        .offset:         56
        .size:           8
        .value_kind:     global_buffer
      - .address_space:  global
        .offset:         64
        .size:           8
        .value_kind:     global_buffer
      - .address_space:  global
        .offset:         72
        .size:           8
        .value_kind:     global_buffer
      - .offset:         80
        .size:           4
        .value_kind:     by_value
      - .address_space:  global
        .offset:         88
        .size:           8
        .value_kind:     global_buffer
      - .address_space:  global
        .offset:         96
        .size:           8
        .value_kind:     global_buffer
    .group_segment_fixed_size: 4704
    .kernarg_segment_align: 8
    .kernarg_segment_size: 104
    .language:       OpenCL C
    .language_version:
      - 2
      - 0
    .max_flat_workgroup_size: 56
    .name:           bluestein_single_fwd_len1176_dim1_half_op_CI_CI
    .private_segment_fixed_size: 0
    .sgpr_count:     18
    .sgpr_spill_count: 0
    .symbol:         bluestein_single_fwd_len1176_dim1_half_op_CI_CI.kd
    .uniform_work_group_size: 1
    .uses_dynamic_stack: false
    .vgpr_count:     215
    .vgpr_spill_count: 0
    .wavefront_size: 32
    .workgroup_processor_mode: 1
amdhsa.target:   amdgcn-amd-amdhsa--gfx1201
amdhsa.version:
  - 1
  - 2
...

	.end_amdgpu_metadata
